;; amdgpu-corpus repo=ROCm/rocFFT kind=compiled arch=gfx1201 opt=O3
	.text
	.amdgcn_target "amdgcn-amd-amdhsa--gfx1201"
	.amdhsa_code_object_version 6
	.protected	bluestein_single_back_len1785_dim1_dp_op_CI_CI ; -- Begin function bluestein_single_back_len1785_dim1_dp_op_CI_CI
	.globl	bluestein_single_back_len1785_dim1_dp_op_CI_CI
	.p2align	8
	.type	bluestein_single_back_len1785_dim1_dp_op_CI_CI,@function
bluestein_single_back_len1785_dim1_dp_op_CI_CI: ; @bluestein_single_back_len1785_dim1_dp_op_CI_CI
; %bb.0:
	s_load_b128 s[8:11], s[0:1], 0x28
	v_mul_u32_u24_e32 v1, 0x227, v0
	s_mov_b32 s2, exec_lo
	v_mov_b32_e32 v4, 0
	s_delay_alu instid0(VALU_DEP_2) | instskip(NEXT) | instid1(VALU_DEP_1)
	v_lshrrev_b32_e32 v1, 16, v1
	v_add_nc_u32_e32 v3, ttmp9, v1
	s_delay_alu instid0(VALU_DEP_1)
	v_mov_b32_e32 v2, v3
	scratch_store_b64 off, v[2:3], off      ; 8-byte Folded Spill
	s_wait_kmcnt 0x0
	v_cmpx_gt_u64_e64 s[8:9], v[3:4]
	s_cbranch_execz .LBB0_23
; %bb.1:
	s_clause 0x1
	s_load_b64 s[8:9], s[0:1], 0x0
	s_load_b64 s[12:13], s[0:1], 0x38
	v_mul_lo_u16 v1, 0x77, v1
	s_delay_alu instid0(VALU_DEP_1) | instskip(NEXT) | instid1(VALU_DEP_1)
	v_sub_nc_u16 v0, v0, v1
	v_and_b32_e32 v224, 0xffff, v0
	v_cmp_gt_u16_e32 vcc_lo, 0x69, v0
	s_delay_alu instid0(VALU_DEP_2)
	v_lshlrev_b32_e32 v255, 4, v224
	s_and_saveexec_b32 s3, vcc_lo
	s_cbranch_execz .LBB0_3
; %bb.2:
	scratch_load_b64 v[0:1], off, off       ; 8-byte Folded Reload
	s_load_b64 s[4:5], s[0:1], 0x18
	s_wait_kmcnt 0x0
	s_load_b128 s[4:7], s[4:5], 0x0
	s_wait_kmcnt 0x0
	v_mad_co_u64_u32 v[32:33], null, s4, v224, 0
	s_wait_loadcnt 0x0
	s_delay_alu instid0(VALU_DEP_1) | instskip(NEXT) | instid1(VALU_DEP_1)
	v_dual_mov_b32 v1, v33 :: v_dual_mov_b32 v2, v0
	v_mad_co_u64_u32 v[16:17], null, s6, v2, 0
	s_delay_alu instid0(VALU_DEP_1) | instskip(NEXT) | instid1(VALU_DEP_1)
	v_mov_b32_e32 v0, v17
	v_mad_co_u64_u32 v[2:3], null, s7, v2, v[0:1]
	s_delay_alu instid0(VALU_DEP_1)
	v_mov_b32_e32 v17, v2
	v_mad_co_u64_u32 v[18:19], null, s5, v224, v[1:2]
	s_mul_u64 s[4:5], s[4:5], 0x690
	s_clause 0x3
	global_load_b128 v[0:3], v255, s[8:9]
	global_load_b128 v[4:7], v255, s[8:9] offset:1680
	global_load_b128 v[8:11], v255, s[8:9] offset:3360
	;; [unrolled: 1-line block ×3, first 2 shown]
	v_lshlrev_b64_e32 v[34:35], 4, v[16:17]
	v_mov_b32_e32 v33, v18
	s_clause 0x3
	global_load_b128 v[16:19], v255, s[8:9] offset:6720
	global_load_b128 v[20:23], v255, s[8:9] offset:8400
	;; [unrolled: 1-line block ×4, first 2 shown]
	v_add_co_u32 v42, s2, s10, v34
	s_delay_alu instid0(VALU_DEP_1)
	v_add_co_ci_u32_e64 v43, s2, s11, v35, s2
	v_lshlrev_b64_e32 v[40:41], 4, v[32:33]
	s_clause 0x1
	global_load_b128 v[32:35], v255, s[8:9] offset:13440
	global_load_b128 v[36:39], v255, s[8:9] offset:15120
	v_add_co_u32 v56, s2, v42, v40
	s_wait_alu 0xf1ff
	v_add_co_ci_u32_e64 v57, s2, v43, v41, s2
	s_clause 0x1
	global_load_b128 v[40:43], v255, s[8:9] offset:16800
	global_load_b128 v[44:47], v255, s[8:9] offset:18480
	s_wait_alu 0xfffe
	v_add_co_u32 v60, s2, v56, s4
	s_wait_alu 0xf1ff
	v_add_co_ci_u32_e64 v61, s2, s5, v57, s2
	s_clause 0x1
	global_load_b128 v[48:51], v255, s[8:9] offset:20160
	global_load_b128 v[52:55], v255, s[8:9] offset:21840
	v_add_co_u32 v64, s2, v60, s4
	s_wait_alu 0xf1ff
	v_add_co_ci_u32_e64 v65, s2, s5, v61, s2
	s_clause 0x1
	global_load_b128 v[56:59], v[56:57], off
	global_load_b128 v[60:63], v[60:61], off
	v_add_co_u32 v68, s2, v64, s4
	s_wait_alu 0xf1ff
	v_add_co_ci_u32_e64 v69, s2, s5, v65, s2
	s_delay_alu instid0(VALU_DEP_2) | instskip(SKIP_1) | instid1(VALU_DEP_2)
	v_add_co_u32 v72, s2, v68, s4
	s_wait_alu 0xf1ff
	v_add_co_ci_u32_e64 v73, s2, s5, v69, s2
	s_clause 0x1
	global_load_b128 v[64:67], v[64:65], off
	global_load_b128 v[68:71], v[68:69], off
	v_add_co_u32 v76, s2, v72, s4
	s_wait_alu 0xf1ff
	v_add_co_ci_u32_e64 v77, s2, s5, v73, s2
	global_load_b128 v[72:75], v[72:73], off
	v_add_co_u32 v80, s2, v76, s4
	s_wait_alu 0xf1ff
	v_add_co_ci_u32_e64 v81, s2, s5, v77, s2
	;; [unrolled: 4-line block ×12, first 2 shown]
	s_clause 0x1
	global_load_b128 v[116:119], v255, s[8:9] offset:23520
	global_load_b128 v[120:123], v255, s[8:9] offset:25200
	global_load_b128 v[124:127], v[124:125], off
	global_load_b128 v[128:131], v255, s[8:9] offset:26880
	global_load_b128 v[132:135], v[132:133], off
	s_wait_loadcnt 0x13
	v_mul_f64_e32 v[136:137], v[58:59], v[2:3]
	v_mul_f64_e32 v[2:3], v[56:57], v[2:3]
	s_wait_loadcnt 0x12
	v_mul_f64_e32 v[138:139], v[62:63], v[6:7]
	v_mul_f64_e32 v[6:7], v[60:61], v[6:7]
	s_wait_loadcnt 0x11
	v_mul_f64_e32 v[140:141], v[66:67], v[10:11]
	v_mul_f64_e32 v[10:11], v[64:65], v[10:11]
	s_wait_loadcnt 0x10
	v_mul_f64_e32 v[142:143], v[70:71], v[14:15]
	v_mul_f64_e32 v[14:15], v[68:69], v[14:15]
	s_wait_loadcnt 0xf
	v_mul_f64_e32 v[144:145], v[74:75], v[18:19]
	v_mul_f64_e32 v[18:19], v[72:73], v[18:19]
	s_wait_loadcnt 0xe
	v_mul_f64_e32 v[146:147], v[78:79], v[22:23]
	v_mul_f64_e32 v[22:23], v[76:77], v[22:23]
	s_wait_loadcnt 0xd
	v_mul_f64_e32 v[148:149], v[82:83], v[26:27]
	v_mul_f64_e32 v[26:27], v[80:81], v[26:27]
	s_wait_loadcnt 0xc
	v_mul_f64_e32 v[150:151], v[86:87], v[30:31]
	v_mul_f64_e32 v[30:31], v[84:85], v[30:31]
	s_wait_loadcnt 0xb
	v_mul_f64_e32 v[152:153], v[90:91], v[34:35]
	v_mul_f64_e32 v[34:35], v[88:89], v[34:35]
	s_wait_loadcnt 0xa
	v_mul_f64_e32 v[154:155], v[94:95], v[38:39]
	v_mul_f64_e32 v[38:39], v[92:93], v[38:39]
	s_wait_loadcnt 0x9
	v_mul_f64_e32 v[156:157], v[98:99], v[42:43]
	v_mul_f64_e32 v[42:43], v[96:97], v[42:43]
	s_wait_loadcnt 0x8
	v_mul_f64_e32 v[158:159], v[102:103], v[46:47]
	v_mul_f64_e32 v[46:47], v[100:101], v[46:47]
	s_wait_loadcnt 0x7
	v_mul_f64_e32 v[160:161], v[106:107], v[50:51]
	v_mul_f64_e32 v[50:51], v[104:105], v[50:51]
	s_wait_loadcnt 0x6
	v_mul_f64_e32 v[162:163], v[110:111], v[54:55]
	v_mul_f64_e32 v[164:165], v[108:109], v[54:55]
	v_fma_f64 v[54:55], v[56:57], v[0:1], v[136:137]
	v_fma_f64 v[56:57], v[58:59], v[0:1], -v[2:3]
	v_fma_f64 v[0:1], v[60:61], v[4:5], v[138:139]
	v_fma_f64 v[2:3], v[62:63], v[4:5], -v[6:7]
	s_wait_loadcnt 0x4
	v_mul_f64_e32 v[166:167], v[114:115], v[118:119]
	v_mul_f64_e32 v[118:119], v[112:113], v[118:119]
	s_wait_loadcnt 0x2
	v_mul_f64_e32 v[168:169], v[126:127], v[122:123]
	v_mul_f64_e32 v[122:123], v[124:125], v[122:123]
	s_wait_loadcnt 0x0
	v_mul_f64_e32 v[170:171], v[134:135], v[130:131]
	v_mul_f64_e32 v[130:131], v[132:133], v[130:131]
	v_fma_f64 v[4:5], v[64:65], v[8:9], v[140:141]
	v_fma_f64 v[6:7], v[66:67], v[8:9], -v[10:11]
	v_fma_f64 v[8:9], v[68:69], v[12:13], v[142:143]
	v_fma_f64 v[10:11], v[70:71], v[12:13], -v[14:15]
	;; [unrolled: 2-line block ×15, first 2 shown]
	ds_store_b128 v255, v[54:57]
	ds_store_b128 v255, v[0:3] offset:1680
	ds_store_b128 v255, v[4:7] offset:3360
	;; [unrolled: 1-line block ×16, first 2 shown]
.LBB0_3:
	s_or_b32 exec_lo, exec_lo, s3
	s_clause 0x1
	s_load_b64 s[4:5], s[0:1], 0x20
	s_load_b64 s[2:3], s[0:1], 0x8
	global_wb scope:SCOPE_SE
	s_wait_storecnt_dscnt 0x0
	s_wait_kmcnt 0x0
	s_barrier_signal -1
	s_barrier_wait -1
	global_inv scope:SCOPE_SE
                                        ; implicit-def: $vgpr0_vgpr1
                                        ; implicit-def: $vgpr20_vgpr21
                                        ; implicit-def: $vgpr28_vgpr29
                                        ; implicit-def: $vgpr32_vgpr33
                                        ; implicit-def: $vgpr36_vgpr37
                                        ; implicit-def: $vgpr52_vgpr53
                                        ; implicit-def: $vgpr56_vgpr57
                                        ; implicit-def: $vgpr64_vgpr65
                                        ; implicit-def: $vgpr68_vgpr69
                                        ; implicit-def: $vgpr72_vgpr73
                                        ; implicit-def: $vgpr60_vgpr61
                                        ; implicit-def: $vgpr48_vgpr49
                                        ; implicit-def: $vgpr24_vgpr25
                                        ; implicit-def: $vgpr16_vgpr17
                                        ; implicit-def: $vgpr12_vgpr13
                                        ; implicit-def: $vgpr8_vgpr9
                                        ; implicit-def: $vgpr4_vgpr5
	s_and_saveexec_b32 s0, vcc_lo
	s_cbranch_execz .LBB0_5
; %bb.4:
	ds_load_b128 v[0:3], v255
	ds_load_b128 v[20:23], v255 offset:1680
	ds_load_b128 v[28:31], v255 offset:3360
	;; [unrolled: 1-line block ×16, first 2 shown]
.LBB0_5:
	s_wait_alu 0xfffe
	s_or_b32 exec_lo, exec_lo, s0
	s_wait_dscnt 0x0
	v_add_f64_e64 v[162:163], v[22:23], -v[6:7]
	v_add_f64_e64 v[168:169], v[20:21], -v[4:5]
	s_mov_b32 s0, 0x5d8e7cdc
	s_mov_b32 s10, 0x2a9d6da3
	s_mov_b32 s1, 0xbfd71e95
	s_mov_b32 s11, 0xbfe58eea
	v_add_f64_e32 v[160:161], v[20:21], v[4:5]
	v_add_f64_e32 v[166:167], v[22:23], v[6:7]
	v_add_f64_e64 v[90:91], v[30:31], -v[10:11]
	v_add_f64_e64 v[76:77], v[28:29], -v[8:9]
	s_mov_b32 s6, 0x370991
	s_mov_b32 s14, 0x75d4884
	s_mov_b32 s20, 0xeb564b22
	s_mov_b32 s7, 0x3fedd6d0
	s_mov_b32 s15, 0x3fe7a5f6
	s_mov_b32 s21, 0xbfefdd0d
	v_add_f64_e32 v[78:79], v[28:29], v[8:9]
	v_add_f64_e32 v[94:95], v[30:31], v[10:11]
	v_add_f64_e64 v[96:97], v[34:35], -v[14:15]
	v_add_f64_e64 v[80:81], v[32:33], -v[12:13]
	s_mov_b32 s16, 0x3259b75e
	s_mov_b32 s26, 0x7c9e640b
	;; [unrolled: 10-line block ×3, first 2 shown]
	s_mov_b32 s24, 0xacd6c6b4
	s_mov_b32 s29, 0x3fdc86fa
	;; [unrolled: 1-line block ×4, first 2 shown]
	v_add_f64_e32 v[86:87], v[36:37], v[16:17]
	v_add_f64_e32 v[110:111], v[38:39], v[18:19]
	s_wait_alu 0xfffe
	v_mul_f64_e32 v[176:177], s[0:1], v[162:163]
	v_mul_f64_e32 v[184:185], s[0:1], v[168:169]
	;; [unrolled: 1-line block ×4, first 2 shown]
	v_add_f64_e64 v[88:89], v[52:53], -v[24:25]
	v_add_f64_e64 v[114:115], v[54:55], -v[26:27]
	s_mov_b32 s30, 0x7faef3
	s_mov_b32 s34, 0x923c349f
	v_mul_f64_e32 v[136:137], s[10:11], v[90:91]
	v_mul_f64_e32 v[138:139], s[10:11], v[76:77]
	;; [unrolled: 1-line block ×4, first 2 shown]
	s_mov_b32 s36, 0x4363dd80
	s_mov_b32 s31, 0xbfef7484
	;; [unrolled: 1-line block ×4, first 2 shown]
	v_add_f64_e32 v[118:119], v[54:55], v[26:27]
	v_add_f64_e64 v[120:121], v[58:59], -v[50:51]
	v_mul_f64_e32 v[144:145], s[26:27], v[96:97]
	v_mul_f64_e32 v[148:149], s[26:27], v[80:81]
	;; [unrolled: 1-line block ×4, first 2 shown]
	s_mov_b32 s40, 0xc61f0d01
	s_mov_b32 s38, 0x910ea3b9
	;; [unrolled: 1-line block ×6, first 2 shown]
	v_mul_f64_e32 v[158:159], s[20:21], v[84:85]
	v_mul_f64_e32 v[152:153], s[20:21], v[106:107]
	;; [unrolled: 1-line block ×4, first 2 shown]
	v_add_f64_e64 v[124:125], v[66:67], -v[62:63]
	s_mov_b32 s47, 0xbfe0d888
	s_mov_b32 s43, 0x3feca52d
	;; [unrolled: 1-line block ×5, first 2 shown]
	v_fma_f64 v[40:41], v[160:161], s[6:7], v[176:177]
	v_fma_f64 v[42:43], v[166:167], s[6:7], -v[184:185]
	v_fma_f64 v[44:45], v[160:161], s[14:15], v[186:187]
	v_fma_f64 v[46:47], v[166:167], s[14:15], -v[192:193]
	v_mul_f64_e32 v[174:175], s[34:35], v[88:89]
	v_mul_f64_e32 v[172:173], s[34:35], v[114:115]
	;; [unrolled: 1-line block ×4, first 2 shown]
	v_fma_f64 v[92:93], v[78:79], s[14:15], v[136:137]
	v_fma_f64 v[98:99], v[94:95], s[14:15], -v[138:139]
	v_fma_f64 v[102:103], v[78:79], s[16:17], v[126:127]
	v_fma_f64 v[104:105], v[94:95], s[16:17], -v[130:131]
	s_mov_b32 s44, s0
	global_wb scope:SCOPE_SE
	s_barrier_signal -1
	s_barrier_wait -1
	global_inv scope:SCOPE_SE
	v_mul_f64_e32 v[182:183], s[18:19], v[120:121]
	v_fma_f64 v[108:109], v[82:83], s[28:29], v[144:145]
	v_fma_f64 v[112:113], v[100:101], s[28:29], -v[148:149]
	v_fma_f64 v[116:117], v[82:83], s[22:23], v[140:141]
	v_fma_f64 v[122:123], v[100:101], s[22:23], -v[142:143]
	v_mul_f64_e32 v[164:165], s[48:49], v[120:121]
	v_fma_f64 v[132:133], v[110:111], s[16:17], -v[158:159]
	v_fma_f64 v[128:129], v[86:87], s[16:17], v[152:153]
	v_fma_f64 v[134:135], v[86:87], s[30:31], v[146:147]
	v_fma_f64 v[178:179], v[110:111], s[30:31], -v[150:151]
	v_mul_f64_e32 v[196:197], s[46:47], v[124:125]
	v_add_f64_e32 v[40:41], v[0:1], v[40:41]
	v_add_f64_e32 v[42:43], v[2:3], v[42:43]
	;; [unrolled: 1-line block ×4, first 2 shown]
	v_fma_f64 v[190:191], v[118:119], s[40:41], -v[174:175]
	v_fma_f64 v[200:201], v[118:119], s[38:39], -v[156:157]
	v_add_f64_e32 v[40:41], v[92:93], v[40:41]
	v_add_f64_e32 v[42:43], v[98:99], v[42:43]
	;; [unrolled: 1-line block ×5, first 2 shown]
	v_add_f64_e64 v[98:99], v[56:57], -v[48:49]
	v_add_f64_e32 v[102:103], v[56:57], v[48:49]
	v_add_f64_e64 v[104:105], v[64:65], -v[60:61]
	v_add_f64_e32 v[40:41], v[108:109], v[40:41]
	v_add_f64_e32 v[42:43], v[112:113], v[42:43]
	;; [unrolled: 1-line block ×5, first 2 shown]
	v_mul_f64_e32 v[188:189], s[18:19], v[98:99]
	v_mul_f64_e32 v[170:171], s[48:49], v[98:99]
	v_fma_f64 v[116:117], v[92:93], s[40:41], v[172:173]
	v_fma_f64 v[194:195], v[92:93], s[38:39], v[154:155]
	v_add_f64_e32 v[108:109], v[64:65], v[60:61]
	v_add_f64_e64 v[112:113], v[68:69], -v[72:73]
	v_mul_f64_e32 v[198:199], s[46:47], v[104:105]
	v_mul_f64_e32 v[180:181], s[42:43], v[104:105]
	v_fma_f64 v[204:205], v[102:103], s[22:23], v[182:183]
	v_fma_f64 v[208:209], v[102:103], s[40:41], v[164:165]
	v_add_f64_e32 v[40:41], v[128:129], v[40:41]
	v_add_f64_e32 v[42:43], v[132:133], v[42:43]
	;; [unrolled: 1-line block ×5, first 2 shown]
	v_add_f64_e64 v[132:133], v[70:71], -v[74:75]
	v_mul_f64_e32 v[178:179], s[42:43], v[124:125]
	v_fma_f64 v[206:207], v[122:123], s[22:23], -v[188:189]
	v_fma_f64 v[210:211], v[122:123], s[40:41], -v[170:171]
	v_add_f64_e32 v[134:135], v[70:71], v[74:75]
	v_mul_f64_e32 v[202:203], s[24:25], v[112:113]
	v_fma_f64 v[212:213], v[108:109], s[38:39], v[196:197]
	v_add_f64_e32 v[40:41], v[116:117], v[40:41]
	v_add_f64_e32 v[42:43], v[190:191], v[42:43]
	;; [unrolled: 1-line block ×5, first 2 shown]
	v_mul_f64_e32 v[200:201], s[24:25], v[132:133]
	v_mul_f64_e32 v[190:191], s[44:45], v[132:133]
	v_mul_f64_e32 v[194:195], s[44:45], v[112:113]
	v_fma_f64 v[214:215], v[128:129], s[38:39], -v[198:199]
	v_fma_f64 v[216:217], v[108:109], s[28:29], v[178:179]
	v_fma_f64 v[218:219], v[128:129], s[28:29], -v[180:181]
	v_add_f64_e32 v[40:41], v[204:205], v[40:41]
	v_add_f64_e32 v[42:43], v[206:207], v[42:43]
	;; [unrolled: 1-line block ×4, first 2 shown]
	v_fma_f64 v[206:207], v[134:135], s[30:31], -v[202:203]
	v_fma_f64 v[204:205], v[116:117], s[30:31], v[200:201]
	v_fma_f64 v[208:209], v[116:117], s[6:7], v[190:191]
	v_fma_f64 v[210:211], v[134:135], s[6:7], -v[194:195]
	v_add_f64_e32 v[40:41], v[212:213], v[40:41]
	v_add_f64_e32 v[42:43], v[214:215], v[42:43]
	;; [unrolled: 1-line block ×4, first 2 shown]
	s_delay_alu instid0(VALU_DEP_4) | instskip(NEXT) | instid1(VALU_DEP_4)
	v_add_f64_e32 v[44:45], v[204:205], v[40:41]
	v_add_f64_e32 v[46:47], v[206:207], v[42:43]
	s_delay_alu instid0(VALU_DEP_4) | instskip(NEXT) | instid1(VALU_DEP_4)
	v_add_f64_e32 v[40:41], v[208:209], v[212:213]
	v_add_f64_e32 v[42:43], v[210:211], v[214:215]
	s_and_saveexec_b32 s33, vcc_lo
	s_cbranch_execz .LBB0_7
; %bb.6:
	v_add_f64_e32 v[20:21], v[0:1], v[20:21]
	v_add_f64_e32 v[22:23], v[2:3], v[22:23]
	s_mov_b32 s53, 0x3fe9895b
	s_mov_b32 s52, s18
	;; [unrolled: 1-line block ×8, first 2 shown]
	v_mul_f64_e32 v[206:207], s[16:17], v[134:135]
	v_mul_f64_e32 v[208:209], s[50:51], v[132:133]
	;; [unrolled: 1-line block ×4, first 2 shown]
	v_add_f64_e32 v[20:21], v[20:21], v[28:29]
	v_add_f64_e32 v[22:23], v[22:23], v[30:31]
	v_mul_f64_e32 v[28:29], s[28:29], v[166:167]
	s_delay_alu instid0(VALU_DEP_3) | instskip(NEXT) | instid1(VALU_DEP_3)
	v_add_f64_e32 v[20:21], v[20:21], v[32:33]
	v_add_f64_e32 v[22:23], v[22:23], v[34:35]
	v_mul_f64_e32 v[34:35], s[14:15], v[160:161]
	s_delay_alu instid0(VALU_DEP_4)
	v_fma_f64 v[30:31], v[168:169], s[42:43], v[28:29]
	v_fma_f64 v[28:29], v[168:169], s[26:27], v[28:29]
	v_mul_f64_e32 v[32:33], s[14:15], v[166:167]
	v_add_f64_e32 v[20:21], v[20:21], v[36:37]
	v_add_f64_e32 v[22:23], v[22:23], v[38:39]
	v_mul_f64_e32 v[38:39], s[24:25], v[162:163]
	v_add_f64_e64 v[34:35], v[34:35], -v[186:187]
	v_mul_f64_e32 v[36:37], s[6:7], v[166:167]
	v_add_f64_e32 v[32:33], v[192:193], v[32:33]
	v_add_f64_e32 v[28:29], v[2:3], v[28:29]
	;; [unrolled: 1-line block ×4, first 2 shown]
	v_mul_f64_e32 v[52:53], s[34:35], v[162:163]
	v_mul_f64_e32 v[54:55], s[20:21], v[162:163]
	v_add_f64_e32 v[36:37], v[184:185], v[36:37]
	v_add_f64_e32 v[184:185], v[2:3], v[30:31]
	;; [unrolled: 1-line block ×4, first 2 shown]
	v_mul_f64_e32 v[56:57], s[26:27], v[162:163]
	v_fma_f64 v[58:59], v[160:161], s[30:31], v[38:39]
	v_fma_f64 v[38:39], v[160:161], s[30:31], -v[38:39]
	v_add_f64_e32 v[20:21], v[20:21], v[64:65]
	v_add_f64_e32 v[22:23], v[22:23], v[66:67]
	v_fma_f64 v[64:65], v[160:161], s[40:41], v[52:53]
	v_fma_f64 v[52:53], v[160:161], s[40:41], -v[52:53]
	v_fma_f64 v[66:67], v[160:161], s[16:17], v[54:55]
	v_fma_f64 v[54:55], v[160:161], s[16:17], -v[54:55]
	v_add_f64_e32 v[58:59], v[0:1], v[58:59]
	v_add_f64_e32 v[38:39], v[0:1], v[38:39]
	;; [unrolled: 1-line block ×4, first 2 shown]
	v_mul_f64_e32 v[70:71], s[6:7], v[160:161]
	v_fma_f64 v[68:69], v[160:161], s[28:29], v[56:57]
	v_fma_f64 v[56:57], v[160:161], s[28:29], -v[56:57]
	v_add_f64_e32 v[64:65], v[0:1], v[64:65]
	v_add_f64_e32 v[52:53], v[0:1], v[52:53]
	;; [unrolled: 1-line block ×6, first 2 shown]
	v_add_f64_e64 v[70:71], v[70:71], -v[176:177]
	v_add_f64_e32 v[68:69], v[0:1], v[68:69]
	v_add_f64_e32 v[30:31], v[0:1], v[56:57]
	;; [unrolled: 1-line block ×4, first 2 shown]
	s_delay_alu instid0(VALU_DEP_2) | instskip(NEXT) | instid1(VALU_DEP_2)
	v_add_f64_e32 v[20:21], v[20:21], v[48:49]
	v_add_f64_e32 v[22:23], v[22:23], v[50:51]
	v_mul_f64_e32 v[48:49], s[46:47], v[162:163]
	v_mul_f64_e32 v[50:51], s[18:19], v[162:163]
	s_delay_alu instid0(VALU_DEP_4) | instskip(NEXT) | instid1(VALU_DEP_4)
	v_add_f64_e32 v[20:21], v[20:21], v[24:25]
	v_add_f64_e32 v[22:23], v[22:23], v[26:27]
	v_mul_f64_e32 v[24:25], s[16:17], v[166:167]
	v_fma_f64 v[60:61], v[160:161], s[38:39], v[48:49]
	v_fma_f64 v[48:49], v[160:161], s[38:39], -v[48:49]
	v_fma_f64 v[62:63], v[160:161], s[22:23], v[50:51]
	v_fma_f64 v[50:51], v[160:161], s[22:23], -v[50:51]
	v_add_f64_e32 v[16:17], v[20:21], v[16:17]
	v_add_f64_e32 v[18:19], v[22:23], v[18:19]
	v_mul_f64_e32 v[20:21], s[40:41], v[166:167]
	v_fma_f64 v[26:27], v[168:169], s[50:51], v[24:25]
	v_fma_f64 v[24:25], v[168:169], s[20:21], v[24:25]
	v_add_f64_e32 v[60:61], v[0:1], v[60:61]
	v_add_f64_e32 v[48:49], v[0:1], v[48:49]
	;; [unrolled: 1-line block ×6, first 2 shown]
	v_mul_f64_e32 v[16:17], s[22:23], v[166:167]
	v_fma_f64 v[22:23], v[168:169], s[48:49], v[20:21]
	v_fma_f64 v[20:21], v[168:169], s[34:35], v[20:21]
	v_add_f64_e32 v[176:177], v[2:3], v[24:25]
	v_add_f64_e32 v[24:25], v[2:3], v[32:33]
	;; [unrolled: 1-line block ×3, first 2 shown]
	v_mul_f64_e32 v[12:13], s[38:39], v[166:167]
	v_add_f64_e32 v[10:11], v[14:15], v[10:11]
	v_fma_f64 v[18:19], v[168:169], s[52:53], v[16:17]
	v_fma_f64 v[16:17], v[168:169], s[18:19], v[16:17]
	v_add_f64_e32 v[162:163], v[2:3], v[22:23]
	v_add_f64_e32 v[22:23], v[0:1], v[70:71]
	;; [unrolled: 1-line block ×3, first 2 shown]
	v_mul_f64_e32 v[8:9], s[30:31], v[166:167]
	v_fma_f64 v[14:15], v[168:169], s[36:37], v[12:13]
	v_fma_f64 v[12:13], v[168:169], s[46:47], v[12:13]
	v_add_f64_e32 v[6:7], v[10:11], v[6:7]
	v_add_f64_e32 v[160:161], v[2:3], v[16:17]
	v_mul_f64_e32 v[16:17], s[38:39], v[100:101]
	v_add_f64_e32 v[74:75], v[2:3], v[18:19]
	v_add_f64_e32 v[166:167], v[2:3], v[20:21]
	;; [unrolled: 1-line block ×3, first 2 shown]
	v_fma_f64 v[10:11], v[168:169], s[54:55], v[8:9]
	v_fma_f64 v[8:9], v[168:169], s[24:25], v[8:9]
	v_add_f64_e32 v[72:73], v[2:3], v[12:13]
	v_mul_f64_e32 v[12:13], s[6:7], v[94:95]
	v_add_f64_e32 v[168:169], v[2:3], v[26:27]
	v_add_f64_e32 v[26:27], v[0:1], v[34:35]
	v_fma_f64 v[18:19], v[80:81], s[36:37], v[16:17]
	v_add_f64_e32 v[14:15], v[2:3], v[14:15]
	v_add_f64_e32 v[10:11], v[2:3], v[10:11]
	v_add_f64_e32 v[8:9], v[2:3], v[8:9]
	v_fma_f64 v[0:1], v[76:77], s[0:1], v[12:13]
	v_fma_f64 v[12:13], v[76:77], s[44:45], v[12:13]
	s_delay_alu instid0(VALU_DEP_2) | instskip(SKIP_1) | instid1(VALU_DEP_3)
	v_add_f64_e32 v[0:1], v[0:1], v[10:11]
	v_mul_f64_e32 v[10:11], s[44:45], v[90:91]
	v_add_f64_e32 v[8:9], v[12:13], v[8:9]
	v_fma_f64 v[12:13], v[80:81], s[46:47], v[16:17]
	v_fma_f64 v[16:17], v[116:117], s[16:17], -v[208:209]
	v_add_f64_e32 v[0:1], v[18:19], v[0:1]
	v_fma_f64 v[2:3], v[78:79], s[6:7], v[10:11]
	v_mul_f64_e32 v[18:19], s[46:47], v[96:97]
	v_fma_f64 v[10:11], v[78:79], s[6:7], -v[10:11]
	v_add_f64_e32 v[8:9], v[12:13], v[8:9]
	s_delay_alu instid0(VALU_DEP_4) | instskip(NEXT) | instid1(VALU_DEP_4)
	v_add_f64_e32 v[2:3], v[2:3], v[58:59]
	v_fma_f64 v[32:33], v[82:83], s[38:39], v[18:19]
	s_delay_alu instid0(VALU_DEP_4) | instskip(SKIP_2) | instid1(VALU_DEP_4)
	v_add_f64_e32 v[10:11], v[10:11], v[38:39]
	v_fma_f64 v[12:13], v[82:83], s[38:39], -v[18:19]
	v_mul_f64_e32 v[18:19], s[42:43], v[90:91]
	v_add_f64_e32 v[2:3], v[32:33], v[2:3]
	v_mul_f64_e32 v[32:33], s[14:15], v[110:111]
	s_delay_alu instid0(VALU_DEP_4) | instskip(NEXT) | instid1(VALU_DEP_2)
	v_add_f64_e32 v[10:11], v[12:13], v[10:11]
	v_fma_f64 v[34:35], v[84:85], s[10:11], v[32:33]
	v_fma_f64 v[12:13], v[84:85], s[56:57], v[32:33]
	v_mul_f64_e32 v[32:33], s[16:17], v[100:101]
	s_delay_alu instid0(VALU_DEP_3) | instskip(SKIP_1) | instid1(VALU_DEP_4)
	v_add_f64_e32 v[0:1], v[34:35], v[0:1]
	v_mul_f64_e32 v[34:35], s[56:57], v[106:107]
	v_add_f64_e32 v[8:9], v[12:13], v[8:9]
	s_delay_alu instid0(VALU_DEP_2) | instskip(SKIP_3) | instid1(VALU_DEP_4)
	v_fma_f64 v[36:37], v[86:87], s[14:15], v[34:35]
	v_fma_f64 v[12:13], v[86:87], s[14:15], -v[34:35]
	v_fma_f64 v[34:35], v[80:81], s[50:51], v[32:33]
	v_fma_f64 v[32:33], v[80:81], s[20:21], v[32:33]
	v_add_f64_e32 v[2:3], v[36:37], v[2:3]
	v_mul_f64_e32 v[36:37], s[22:23], v[118:119]
	v_add_f64_e32 v[10:11], v[12:13], v[10:11]
	s_delay_alu instid0(VALU_DEP_2) | instskip(SKIP_1) | instid1(VALU_DEP_2)
	v_fma_f64 v[56:57], v[88:89], s[52:53], v[36:37]
	v_fma_f64 v[12:13], v[88:89], s[18:19], v[36:37]
	v_add_f64_e32 v[0:1], v[56:57], v[0:1]
	v_mul_f64_e32 v[56:57], s[18:19], v[114:115]
	s_delay_alu instid0(VALU_DEP_3) | instskip(NEXT) | instid1(VALU_DEP_2)
	v_add_f64_e32 v[8:9], v[12:13], v[8:9]
	v_fma_f64 v[58:59], v[92:93], s[22:23], v[56:57]
	v_fma_f64 v[12:13], v[92:93], s[22:23], -v[56:57]
	s_delay_alu instid0(VALU_DEP_2) | instskip(SKIP_1) | instid1(VALU_DEP_3)
	v_add_f64_e32 v[2:3], v[58:59], v[2:3]
	v_mul_f64_e32 v[58:59], s[28:29], v[122:123]
	v_add_f64_e32 v[10:11], v[12:13], v[10:11]
	s_delay_alu instid0(VALU_DEP_2) | instskip(SKIP_1) | instid1(VALU_DEP_2)
	v_fma_f64 v[70:71], v[98:99], s[26:27], v[58:59]
	v_fma_f64 v[12:13], v[98:99], s[42:43], v[58:59]
	v_add_f64_e32 v[0:1], v[70:71], v[0:1]
	v_mul_f64_e32 v[70:71], s[42:43], v[120:121]
	s_delay_alu instid0(VALU_DEP_3) | instskip(NEXT) | instid1(VALU_DEP_2)
	v_add_f64_e32 v[8:9], v[12:13], v[8:9]
	v_fma_f64 v[186:187], v[102:103], s[28:29], v[70:71]
	v_fma_f64 v[12:13], v[102:103], s[28:29], -v[70:71]
	s_delay_alu instid0(VALU_DEP_2) | instskip(SKIP_1) | instid1(VALU_DEP_3)
	v_add_f64_e32 v[2:3], v[186:187], v[2:3]
	v_mul_f64_e32 v[186:187], s[40:41], v[128:129]
	v_add_f64_e32 v[10:11], v[12:13], v[10:11]
	s_delay_alu instid0(VALU_DEP_2) | instskip(SKIP_1) | instid1(VALU_DEP_2)
	v_fma_f64 v[192:193], v[104:105], s[48:49], v[186:187]
	v_fma_f64 v[12:13], v[104:105], s[34:35], v[186:187]
	v_add_f64_e32 v[0:1], v[192:193], v[0:1]
	v_mul_f64_e32 v[192:193], s[34:35], v[124:125]
	s_delay_alu instid0(VALU_DEP_3) | instskip(NEXT) | instid1(VALU_DEP_2)
	v_add_f64_e32 v[8:9], v[12:13], v[8:9]
	v_fma_f64 v[12:13], v[108:109], s[40:41], -v[192:193]
	v_fma_f64 v[204:205], v[108:109], s[40:41], v[192:193]
	s_delay_alu instid0(VALU_DEP_2) | instskip(SKIP_1) | instid1(VALU_DEP_3)
	v_add_f64_e32 v[12:13], v[12:13], v[10:11]
	v_fma_f64 v[10:11], v[112:113], s[50:51], v[206:207]
	v_add_f64_e32 v[204:205], v[204:205], v[2:3]
	v_fma_f64 v[2:3], v[112:113], s[20:21], v[206:207]
	v_mul_f64_e32 v[206:207], s[40:41], v[134:135]
	s_delay_alu instid0(VALU_DEP_4)
	v_add_f64_e32 v[10:11], v[10:11], v[8:9]
	v_add_f64_e32 v[8:9], v[16:17], v[12:13]
	v_mul_f64_e32 v[16:17], s[28:29], v[94:95]
	v_add_f64_e32 v[2:3], v[2:3], v[0:1]
	v_fma_f64 v[0:1], v[116:117], s[16:17], v[208:209]
	v_mul_f64_e32 v[208:209], s[34:35], v[132:133]
	s_delay_alu instid0(VALU_DEP_4) | instskip(SKIP_1) | instid1(VALU_DEP_4)
	v_fma_f64 v[12:13], v[76:77], s[26:27], v[16:17]
	v_fma_f64 v[16:17], v[76:77], s[42:43], v[16:17]
	v_add_f64_e32 v[0:1], v[0:1], v[204:205]
	s_delay_alu instid0(VALU_DEP_3) | instskip(SKIP_1) | instid1(VALU_DEP_4)
	v_add_f64_e32 v[12:13], v[12:13], v[14:15]
	v_fma_f64 v[14:15], v[78:79], s[28:29], v[18:19]
	v_add_f64_e32 v[16:17], v[16:17], v[72:73]
	v_fma_f64 v[18:19], v[78:79], s[28:29], -v[18:19]
	v_mul_f64_e32 v[72:73], s[18:19], v[90:91]
	v_add_f64_e32 v[12:13], v[34:35], v[12:13]
	v_mul_f64_e32 v[34:35], s[20:21], v[96:97]
	v_add_f64_e32 v[14:15], v[14:15], v[60:61]
	v_add_f64_e32 v[18:19], v[18:19], v[48:49]
	;; [unrolled: 1-line block ×3, first 2 shown]
	v_mul_f64_e32 v[48:49], s[28:29], v[82:83]
	v_fma_f64 v[36:37], v[82:83], s[16:17], v[34:35]
	v_fma_f64 v[32:33], v[82:83], s[16:17], -v[34:35]
	v_fma_f64 v[34:35], v[116:117], s[40:41], -v[208:209]
	s_delay_alu instid0(VALU_DEP_4) | instskip(SKIP_4) | instid1(VALU_DEP_2)
	v_add_f64_e64 v[48:49], v[48:49], -v[144:145]
	v_mul_f64_e32 v[144:145], s[6:7], v[122:123]
	v_add_f64_e32 v[14:15], v[36:37], v[14:15]
	v_mul_f64_e32 v[36:37], s[22:23], v[110:111]
	v_add_f64_e32 v[18:19], v[32:33], v[18:19]
	v_fma_f64 v[38:39], v[84:85], s[18:19], v[36:37]
	v_fma_f64 v[32:33], v[84:85], s[52:53], v[36:37]
	v_mul_f64_e32 v[36:37], s[14:15], v[94:95]
	s_delay_alu instid0(VALU_DEP_3) | instskip(SKIP_1) | instid1(VALU_DEP_4)
	v_add_f64_e32 v[12:13], v[38:39], v[12:13]
	v_mul_f64_e32 v[38:39], s[52:53], v[106:107]
	v_add_f64_e32 v[16:17], v[32:33], v[16:17]
	s_delay_alu instid0(VALU_DEP_4) | instskip(SKIP_1) | instid1(VALU_DEP_4)
	v_add_f64_e32 v[36:37], v[138:139], v[36:37]
	v_mul_f64_e32 v[138:139], s[48:49], v[106:107]
	v_fma_f64 v[56:57], v[86:87], s[22:23], v[38:39]
	v_fma_f64 v[32:33], v[86:87], s[22:23], -v[38:39]
	v_mul_f64_e32 v[38:39], s[16:17], v[86:87]
	v_add_f64_e32 v[20:21], v[36:37], v[20:21]
	v_mul_f64_e32 v[36:37], s[22:23], v[102:103]
	v_add_f64_e32 v[14:15], v[56:57], v[14:15]
	;; [unrolled: 2-line block ×3, first 2 shown]
	v_add_f64_e64 v[38:39], v[38:39], -v[152:153]
	v_add_f64_e64 v[36:37], v[36:37], -v[182:183]
	v_mul_f64_e32 v[152:153], s[38:39], v[134:135]
	v_mul_f64_e32 v[182:183], s[22:23], v[128:129]
	v_fma_f64 v[58:59], v[88:89], s[44:45], v[56:57]
	v_fma_f64 v[32:33], v[88:89], s[0:1], v[56:57]
	v_mul_f64_e32 v[56:57], s[14:15], v[78:79]
	s_delay_alu instid0(VALU_DEP_3) | instskip(SKIP_1) | instid1(VALU_DEP_4)
	v_add_f64_e32 v[12:13], v[58:59], v[12:13]
	v_mul_f64_e32 v[58:59], s[0:1], v[114:115]
	v_add_f64_e32 v[16:17], v[32:33], v[16:17]
	s_delay_alu instid0(VALU_DEP_4) | instskip(SKIP_1) | instid1(VALU_DEP_4)
	v_add_f64_e64 v[56:57], v[56:57], -v[136:137]
	v_mul_f64_e32 v[136:137], s[40:41], v[110:111]
	v_fma_f64 v[60:61], v[92:93], s[6:7], v[58:59]
	v_fma_f64 v[32:33], v[92:93], s[6:7], -v[58:59]
	s_delay_alu instid0(VALU_DEP_4)
	v_add_f64_e32 v[22:23], v[56:57], v[22:23]
	v_mul_f64_e32 v[58:59], s[40:41], v[118:119]
	v_mul_f64_e32 v[56:57], s[16:17], v[78:79]
	v_add_f64_e32 v[14:15], v[60:61], v[14:15]
	v_mul_f64_e32 v[60:61], s[30:31], v[122:123]
	v_add_f64_e32 v[18:19], v[32:33], v[18:19]
	v_add_f64_e32 v[22:23], v[48:49], v[22:23]
	;; [unrolled: 1-line block ×3, first 2 shown]
	v_mul_f64_e32 v[48:49], s[22:23], v[82:83]
	v_add_f64_e64 v[56:57], v[56:57], -v[126:127]
	v_mul_f64_e32 v[126:127], s[30:31], v[100:101]
	v_mul_f64_e32 v[174:175], s[28:29], v[118:119]
	v_fma_f64 v[70:71], v[98:99], s[54:55], v[60:61]
	v_fma_f64 v[32:33], v[98:99], s[24:25], v[60:61]
	v_mul_f64_e32 v[60:61], s[40:41], v[92:93]
	v_add_f64_e32 v[22:23], v[38:39], v[22:23]
	v_mul_f64_e32 v[38:39], s[30:31], v[134:135]
	v_add_f64_e64 v[48:49], v[48:49], -v[140:141]
	v_add_f64_e32 v[26:27], v[56:57], v[26:27]
	v_mul_f64_e32 v[140:141], s[14:15], v[118:119]
	v_mul_f64_e32 v[56:57], s[38:39], v[94:95]
	v_add_f64_e32 v[12:13], v[70:71], v[12:13]
	v_mul_f64_e32 v[70:71], s[24:25], v[120:121]
	v_add_f64_e32 v[16:17], v[32:33], v[16:17]
	v_add_f64_e64 v[60:61], v[60:61], -v[172:173]
	v_add_f64_e32 v[38:39], v[202:203], v[38:39]
	v_mul_f64_e32 v[172:173], s[44:45], v[106:107]
	v_add_f64_e32 v[26:27], v[48:49], v[26:27]
	v_mul_f64_e32 v[202:203], s[16:17], v[122:123]
	v_fma_f64 v[186:187], v[102:103], s[30:31], v[70:71]
	v_fma_f64 v[32:33], v[102:103], s[30:31], -v[70:71]
	v_mul_f64_e32 v[70:71], s[22:23], v[122:123]
	v_add_f64_e32 v[22:23], v[60:61], v[22:23]
	v_mul_f64_e32 v[60:61], s[38:39], v[92:93]
	v_add_f64_e32 v[14:15], v[186:187], v[14:15]
	;; [unrolled: 2-line block ×3, first 2 shown]
	v_add_f64_e32 v[70:71], v[188:189], v[70:71]
	v_add_f64_e32 v[22:23], v[36:37], v[22:23]
	v_mul_f64_e32 v[36:37], s[30:31], v[116:117]
	v_add_f64_e64 v[60:61], v[60:61], -v[154:155]
	v_mul_f64_e32 v[154:155], s[46:47], v[132:133]
	v_mul_f64_e32 v[188:189], s[14:15], v[134:135]
	v_fma_f64 v[192:193], v[104:105], s[10:11], v[186:187]
	v_fma_f64 v[32:33], v[104:105], s[56:57], v[186:187]
	v_mul_f64_e32 v[186:187], s[52:53], v[124:125]
	v_add_f64_e64 v[36:37], v[36:37], -v[200:201]
	v_mul_f64_e32 v[200:201], s[24:25], v[114:115]
	v_add_f64_e32 v[12:13], v[192:193], v[12:13]
	v_mul_f64_e32 v[192:193], s[56:57], v[124:125]
	v_add_f64_e32 v[16:17], v[32:33], v[16:17]
	s_delay_alu instid0(VALU_DEP_2) | instskip(SKIP_2) | instid1(VALU_DEP_3)
	v_fma_f64 v[32:33], v[108:109], s[14:15], -v[192:193]
	v_fma_f64 v[204:205], v[108:109], s[14:15], v[192:193]
	v_mul_f64_e32 v[192:193], s[56:57], v[96:97]
	v_add_f64_e32 v[32:33], v[32:33], v[18:19]
	v_fma_f64 v[18:19], v[112:113], s[34:35], v[206:207]
	s_delay_alu instid0(VALU_DEP_4) | instskip(SKIP_2) | instid1(VALU_DEP_4)
	v_add_f64_e32 v[204:205], v[204:205], v[14:15]
	v_fma_f64 v[14:15], v[112:113], s[48:49], v[206:207]
	v_mul_f64_e32 v[206:207], s[6:7], v[128:129]
	v_add_f64_e32 v[18:19], v[18:19], v[16:17]
	v_add_f64_e32 v[16:17], v[34:35], v[32:33]
	v_mul_f64_e32 v[34:35], s[28:29], v[100:101]
	v_mul_f64_e32 v[32:33], s[16:17], v[110:111]
	v_add_f64_e32 v[14:15], v[14:15], v[12:13]
	v_fma_f64 v[12:13], v[116:117], s[40:41], v[208:209]
	v_mul_f64_e32 v[208:209], s[0:1], v[124:125]
	v_add_f64_e32 v[34:35], v[148:149], v[34:35]
	v_add_f64_e32 v[32:33], v[158:159], v[32:33]
	v_mul_f64_e32 v[148:149], s[16:17], v[128:129]
	v_mul_f64_e32 v[158:159], s[40:41], v[100:101]
	v_add_f64_e32 v[12:13], v[12:13], v[204:205]
	v_mul_f64_e32 v[204:205], s[50:51], v[120:121]
	v_add_f64_e32 v[20:21], v[34:35], v[20:21]
	v_mul_f64_e32 v[34:35], s[38:39], v[128:129]
	s_delay_alu instid0(VALU_DEP_2) | instskip(SKIP_1) | instid1(VALU_DEP_3)
	v_add_f64_e32 v[20:21], v[32:33], v[20:21]
	v_mul_f64_e32 v[32:33], s[38:39], v[108:109]
	v_add_f64_e32 v[34:35], v[198:199], v[34:35]
	v_mul_f64_e32 v[198:199], s[30:31], v[118:119]
	s_delay_alu instid0(VALU_DEP_4) | instskip(NEXT) | instid1(VALU_DEP_4)
	v_add_f64_e32 v[20:21], v[58:59], v[20:21]
	v_add_f64_e64 v[32:33], v[32:33], -v[196:197]
	v_mul_f64_e32 v[58:59], s[38:39], v[118:119]
	v_mul_f64_e32 v[196:197], s[26:27], v[106:107]
	s_delay_alu instid0(VALU_DEP_4) | instskip(NEXT) | instid1(VALU_DEP_4)
	v_add_f64_e32 v[20:21], v[70:71], v[20:21]
	v_add_f64_e32 v[32:33], v[32:33], v[22:23]
	s_delay_alu instid0(VALU_DEP_4) | instskip(SKIP_4) | instid1(VALU_DEP_4)
	v_add_f64_e32 v[58:59], v[156:157], v[58:59]
	v_mul_f64_e32 v[70:71], s[40:41], v[122:123]
	v_mul_f64_e32 v[156:157], s[24:25], v[90:91]
	v_add_f64_e32 v[20:21], v[34:35], v[20:21]
	v_mul_f64_e32 v[34:35], s[22:23], v[100:101]
	v_add_f64_e32 v[70:71], v[170:171], v[70:71]
	v_mul_f64_e32 v[170:171], s[6:7], v[110:111]
	s_delay_alu instid0(VALU_DEP_4)
	v_add_f64_e32 v[22:23], v[38:39], v[20:21]
	v_add_f64_e32 v[20:21], v[36:37], v[32:33]
	v_mul_f64_e32 v[36:37], s[16:17], v[94:95]
	v_mul_f64_e32 v[32:33], s[30:31], v[110:111]
	v_add_f64_e32 v[34:35], v[142:143], v[34:35]
	v_mul_f64_e32 v[38:39], s[30:31], v[86:87]
	v_mul_f64_e32 v[142:143], s[56:57], v[114:115]
	v_add_f64_e32 v[36:37], v[130:131], v[36:37]
	v_add_f64_e32 v[32:33], v[150:151], v[32:33]
	v_mul_f64_e32 v[130:131], s[54:55], v[96:97]
	v_add_f64_e64 v[38:39], v[38:39], -v[146:147]
	v_mul_f64_e32 v[146:147], s[0:1], v[120:121]
	v_mul_f64_e32 v[150:151], s[20:21], v[124:125]
	v_add_f64_e32 v[24:25], v[36:37], v[24:25]
	v_mul_f64_e32 v[36:37], s[40:41], v[102:103]
	v_add_f64_e32 v[26:27], v[38:39], v[26:27]
	v_mul_f64_e32 v[38:39], s[6:7], v[134:135]
	s_delay_alu instid0(VALU_DEP_4) | instskip(NEXT) | instid1(VALU_DEP_4)
	v_add_f64_e32 v[24:25], v[34:35], v[24:25]
	v_add_f64_e64 v[36:37], v[36:37], -v[164:165]
	v_mul_f64_e32 v[34:35], s[28:29], v[128:129]
	v_add_f64_e32 v[26:27], v[60:61], v[26:27]
	v_add_f64_e32 v[38:39], v[194:195], v[38:39]
	v_mul_f64_e32 v[60:61], s[30:31], v[94:95]
	v_mul_f64_e32 v[164:165], s[48:49], v[96:97]
	;; [unrolled: 1-line block ×3, first 2 shown]
	v_add_f64_e32 v[24:25], v[32:33], v[24:25]
	v_mul_f64_e32 v[32:33], s[28:29], v[108:109]
	v_add_f64_e32 v[34:35], v[180:181], v[34:35]
	v_add_f64_e32 v[26:27], v[36:37], v[26:27]
	v_mul_f64_e32 v[36:37], s[6:7], v[116:117]
	v_mul_f64_e32 v[180:181], s[46:47], v[120:121]
	v_add_f64_e32 v[24:25], v[58:59], v[24:25]
	v_add_f64_e64 v[32:33], v[32:33], -v[178:179]
	v_mul_f64_e32 v[178:179], s[38:39], v[122:123]
	v_mul_f64_e32 v[58:59], s[36:37], v[90:91]
	v_add_f64_e64 v[36:37], v[36:37], -v[190:191]
	v_mul_f64_e32 v[190:191], s[56:57], v[132:133]
	v_mul_f64_e32 v[132:133], s[42:43], v[132:133]
	v_add_f64_e32 v[24:25], v[70:71], v[24:25]
	v_add_f64_e32 v[32:33], v[32:33], v[26:27]
	v_mul_f64_e32 v[70:71], s[22:23], v[94:95]
	s_delay_alu instid0(VALU_DEP_3) | instskip(SKIP_1) | instid1(VALU_DEP_2)
	v_add_f64_e32 v[24:25], v[34:35], v[24:25]
	v_fma_f64 v[34:35], v[78:79], s[30:31], -v[156:157]
	v_add_f64_e32 v[26:27], v[38:39], v[24:25]
	v_add_f64_e32 v[24:25], v[36:37], v[32:33]
	v_fma_f64 v[32:33], v[76:77], s[18:19], v[70:71]
	v_fma_f64 v[36:37], v[80:81], s[48:49], v[158:159]
	v_add_f64_e32 v[34:35], v[34:35], v[54:55]
	v_fma_f64 v[38:39], v[78:79], s[38:39], -v[58:59]
	v_mul_f64_e32 v[54:55], s[48:49], v[90:91]
	v_fma_f64 v[58:59], v[78:79], s[38:39], v[58:59]
	v_add_f64_e32 v[28:29], v[32:33], v[28:29]
	v_fma_f64 v[32:33], v[78:79], s[22:23], -v[72:73]
	v_add_f64_e32 v[38:39], v[38:39], v[52:53]
	v_mul_f64_e32 v[52:53], s[40:41], v[94:95]
	v_fma_f64 v[90:91], v[78:79], s[40:41], -v[54:55]
	v_fma_f64 v[54:55], v[78:79], s[40:41], v[54:55]
	v_add_f64_e32 v[58:59], v[58:59], v[64:65]
	v_fma_f64 v[64:65], v[116:117], s[22:23], v[212:213]
	v_add_f64_e32 v[30:31], v[32:33], v[30:31]
	;; [unrolled: 2-line block ×3, first 2 shown]
	v_mul_f64_e32 v[90:91], s[6:7], v[100:101]
	v_add_f64_e32 v[54:55], v[54:55], v[62:63]
	s_delay_alu instid0(VALU_DEP_4) | instskip(SKIP_1) | instid1(VALU_DEP_4)
	v_add_f64_e32 v[28:29], v[32:33], v[28:29]
	v_fma_f64 v[32:33], v[82:83], s[30:31], -v[130:131]
	v_fma_f64 v[94:95], v[80:81], s[0:1], v[90:91]
	v_fma_f64 v[62:63], v[80:81], s[44:45], v[90:91]
	s_delay_alu instid0(VALU_DEP_3) | instskip(SKIP_1) | instid1(VALU_DEP_1)
	v_add_f64_e32 v[30:31], v[32:33], v[30:31]
	v_fma_f64 v[32:33], v[84:85], s[48:49], v[136:137]
	v_add_f64_e32 v[28:29], v[32:33], v[28:29]
	v_fma_f64 v[32:33], v[86:87], s[40:41], -v[138:139]
	s_delay_alu instid0(VALU_DEP_1) | instskip(SKIP_1) | instid1(VALU_DEP_1)
	v_add_f64_e32 v[30:31], v[32:33], v[30:31]
	v_fma_f64 v[32:33], v[88:89], s[56:57], v[140:141]
	v_add_f64_e32 v[28:29], v[32:33], v[28:29]
	v_fma_f64 v[32:33], v[92:93], s[14:15], -v[142:143]
	s_delay_alu instid0(VALU_DEP_1) | instskip(SKIP_1) | instid1(VALU_DEP_1)
	;; [unrolled: 5-line block ×4, first 2 shown]
	v_add_f64_e32 v[32:33], v[32:33], v[30:31]
	v_fma_f64 v[30:31], v[112:113], s[46:47], v[152:153]
	v_add_f64_e32 v[30:31], v[30:31], v[28:29]
	v_fma_f64 v[28:29], v[116:117], s[38:39], -v[154:155]
	s_delay_alu instid0(VALU_DEP_1) | instskip(SKIP_2) | instid1(VALU_DEP_2)
	v_add_f64_e32 v[28:29], v[28:29], v[32:33]
	v_fma_f64 v[32:33], v[76:77], s[24:25], v[60:61]
	v_fma_f64 v[60:61], v[76:77], s[54:55], v[60:61]
	v_add_f64_e32 v[32:33], v[32:33], v[176:177]
	v_mul_f64_e32 v[176:177], s[26:27], v[114:115]
	s_delay_alu instid0(VALU_DEP_3) | instskip(NEXT) | instid1(VALU_DEP_3)
	v_add_f64_e32 v[60:61], v[60:61], v[168:169]
	v_add_f64_e32 v[32:33], v[36:37], v[32:33]
	v_fma_f64 v[36:37], v[82:83], s[40:41], -v[164:165]
	s_delay_alu instid0(VALU_DEP_1) | instskip(SKIP_1) | instid1(VALU_DEP_1)
	v_add_f64_e32 v[34:35], v[36:37], v[34:35]
	v_fma_f64 v[36:37], v[84:85], s[44:45], v[170:171]
	v_add_f64_e32 v[32:33], v[36:37], v[32:33]
	v_fma_f64 v[36:37], v[86:87], s[6:7], -v[172:173]
	s_delay_alu instid0(VALU_DEP_1) | instskip(SKIP_1) | instid1(VALU_DEP_1)
	v_add_f64_e32 v[34:35], v[36:37], v[34:35]
	v_fma_f64 v[36:37], v[88:89], s[26:27], v[174:175]
	;; [unrolled: 5-line block ×5, first 2 shown]
	v_add_f64_e32 v[34:35], v[34:35], v[32:33]
	v_fma_f64 v[32:33], v[116:117], s[14:15], -v[190:191]
	s_delay_alu instid0(VALU_DEP_1) | instskip(SKIP_2) | instid1(VALU_DEP_2)
	v_add_f64_e32 v[32:33], v[32:33], v[36:37]
	v_fma_f64 v[36:37], v[76:77], s[36:37], v[56:57]
	v_fma_f64 v[56:57], v[76:77], s[46:47], v[56:57]
	v_add_f64_e32 v[36:37], v[36:37], v[166:167]
	v_mul_f64_e32 v[166:167], s[14:15], v[100:101]
	s_delay_alu instid0(VALU_DEP_3) | instskip(NEXT) | instid1(VALU_DEP_2)
	v_add_f64_e32 v[56:57], v[56:57], v[162:163]
	v_fma_f64 v[48:49], v[80:81], s[56:57], v[166:167]
	s_delay_alu instid0(VALU_DEP_1) | instskip(SKIP_1) | instid1(VALU_DEP_1)
	v_add_f64_e32 v[36:37], v[48:49], v[36:37]
	v_fma_f64 v[48:49], v[82:83], s[14:15], -v[192:193]
	v_add_f64_e32 v[38:39], v[48:49], v[38:39]
	v_fma_f64 v[48:49], v[84:85], s[26:27], v[194:195]
	s_delay_alu instid0(VALU_DEP_1) | instskip(SKIP_1) | instid1(VALU_DEP_1)
	v_add_f64_e32 v[36:37], v[48:49], v[36:37]
	v_fma_f64 v[48:49], v[86:87], s[28:29], -v[196:197]
	;; [unrolled: 5-line block ×6, first 2 shown]
	v_add_f64_e32 v[36:37], v[36:37], v[48:49]
	v_fma_f64 v[48:49], v[76:77], s[48:49], v[52:53]
	v_fma_f64 v[52:53], v[76:77], s[34:35], v[52:53]
	s_delay_alu instid0(VALU_DEP_2) | instskip(NEXT) | instid1(VALU_DEP_2)
	v_add_f64_e32 v[48:49], v[48:49], v[160:161]
	v_add_f64_e32 v[52:53], v[52:53], v[74:75]
	v_fma_f64 v[74:75], v[116:117], s[28:29], v[132:133]
	s_delay_alu instid0(VALU_DEP_3) | instskip(SKIP_1) | instid1(VALU_DEP_4)
	v_add_f64_e32 v[48:49], v[94:95], v[48:49]
	v_mul_f64_e32 v[94:95], s[0:1], v[96:97]
	v_add_f64_e32 v[52:53], v[62:63], v[52:53]
	s_delay_alu instid0(VALU_DEP_2) | instskip(SKIP_1) | instid1(VALU_DEP_2)
	v_fma_f64 v[96:97], v[82:83], s[6:7], -v[94:95]
	v_fma_f64 v[62:63], v[82:83], s[6:7], v[94:95]
	v_add_f64_e32 v[50:51], v[96:97], v[50:51]
	v_mul_f64_e32 v[96:97], s[38:39], v[110:111]
	s_delay_alu instid0(VALU_DEP_3) | instskip(NEXT) | instid1(VALU_DEP_2)
	v_add_f64_e32 v[54:55], v[62:63], v[54:55]
	v_fma_f64 v[100:101], v[84:85], s[46:47], v[96:97]
	v_fma_f64 v[62:63], v[84:85], s[36:37], v[96:97]
	s_delay_alu instid0(VALU_DEP_2) | instskip(SKIP_1) | instid1(VALU_DEP_3)
	v_add_f64_e32 v[48:49], v[100:101], v[48:49]
	v_mul_f64_e32 v[100:101], s[46:47], v[106:107]
	v_add_f64_e32 v[52:53], v[62:63], v[52:53]
	s_delay_alu instid0(VALU_DEP_2) | instskip(SKIP_1) | instid1(VALU_DEP_2)
	v_fma_f64 v[106:107], v[86:87], s[38:39], -v[100:101]
	v_fma_f64 v[62:63], v[86:87], s[38:39], v[100:101]
	v_add_f64_e32 v[50:51], v[106:107], v[50:51]
	v_mul_f64_e32 v[106:107], s[16:17], v[118:119]
	s_delay_alu instid0(VALU_DEP_3) | instskip(NEXT) | instid1(VALU_DEP_2)
	v_add_f64_e32 v[54:55], v[62:63], v[54:55]
	v_fma_f64 v[110:111], v[88:89], s[50:51], v[106:107]
	v_fma_f64 v[62:63], v[88:89], s[20:21], v[106:107]
	s_delay_alu instid0(VALU_DEP_2) | instskip(SKIP_1) | instid1(VALU_DEP_3)
	;; [unrolled: 13-line block ×3, first 2 shown]
	v_add_f64_e32 v[48:49], v[118:119], v[48:49]
	v_mul_f64_e32 v[118:119], s[10:11], v[120:121]
	v_add_f64_e32 v[52:53], v[62:63], v[52:53]
	s_delay_alu instid0(VALU_DEP_2) | instskip(SKIP_1) | instid1(VALU_DEP_2)
	v_fma_f64 v[120:121], v[102:103], s[14:15], -v[118:119]
	v_fma_f64 v[62:63], v[102:103], s[14:15], v[118:119]
	v_add_f64_e32 v[50:51], v[120:121], v[50:51]
	v_mul_f64_e32 v[120:121], s[30:31], v[128:129]
	s_delay_alu instid0(VALU_DEP_3) | instskip(SKIP_1) | instid1(VALU_DEP_3)
	v_add_f64_e32 v[54:55], v[62:63], v[54:55]
	v_mul_f64_e32 v[128:129], s[28:29], v[134:135]
	v_fma_f64 v[122:123], v[104:105], s[24:25], v[120:121]
	v_fma_f64 v[62:63], v[104:105], s[54:55], v[120:121]
	s_delay_alu instid0(VALU_DEP_2) | instskip(SKIP_1) | instid1(VALU_DEP_3)
	v_add_f64_e32 v[48:49], v[122:123], v[48:49]
	v_mul_f64_e32 v[122:123], s[24:25], v[124:125]
	v_add_f64_e32 v[52:53], v[62:63], v[52:53]
	s_delay_alu instid0(VALU_DEP_2) | instskip(SKIP_1) | instid1(VALU_DEP_2)
	v_fma_f64 v[62:63], v[108:109], s[30:31], v[122:123]
	v_fma_f64 v[124:125], v[108:109], s[30:31], -v[122:123]
	v_add_f64_e32 v[62:63], v[62:63], v[54:55]
	v_fma_f64 v[54:55], v[112:113], s[26:27], v[128:129]
	s_delay_alu instid0(VALU_DEP_3) | instskip(SKIP_1) | instid1(VALU_DEP_3)
	v_add_f64_e32 v[124:125], v[124:125], v[50:51]
	v_fma_f64 v[50:51], v[112:113], s[42:43], v[128:129]
	v_add_f64_e32 v[54:55], v[54:55], v[52:53]
	v_add_f64_e32 v[52:53], v[74:75], v[62:63]
	v_fma_f64 v[62:63], v[80:81], s[10:11], v[166:167]
	s_delay_alu instid0(VALU_DEP_4) | instskip(SKIP_1) | instid1(VALU_DEP_3)
	v_add_f64_e32 v[50:51], v[50:51], v[48:49]
	v_fma_f64 v[48:49], v[116:117], s[28:29], -v[132:133]
	v_add_f64_e32 v[56:57], v[62:63], v[56:57]
	v_fma_f64 v[62:63], v[82:83], s[14:15], v[192:193]
	s_delay_alu instid0(VALU_DEP_3) | instskip(NEXT) | instid1(VALU_DEP_2)
	v_add_f64_e32 v[48:49], v[48:49], v[124:125]
	v_add_f64_e32 v[58:59], v[62:63], v[58:59]
	v_fma_f64 v[62:63], v[84:85], s[42:43], v[194:195]
	s_delay_alu instid0(VALU_DEP_1) | instskip(SKIP_1) | instid1(VALU_DEP_1)
	v_add_f64_e32 v[56:57], v[62:63], v[56:57]
	v_fma_f64 v[62:63], v[86:87], s[28:29], v[196:197]
	v_add_f64_e32 v[58:59], v[62:63], v[58:59]
	v_fma_f64 v[62:63], v[88:89], s[54:55], v[198:199]
	s_delay_alu instid0(VALU_DEP_1) | instskip(SKIP_1) | instid1(VALU_DEP_1)
	v_add_f64_e32 v[56:57], v[62:63], v[56:57]
	v_fma_f64 v[62:63], v[92:93], s[30:31], v[200:201]
	;; [unrolled: 5-line block ×4, first 2 shown]
	v_add_f64_e32 v[62:63], v[62:63], v[58:59]
	v_fma_f64 v[58:59], v[112:113], s[52:53], v[210:211]
	s_delay_alu instid0(VALU_DEP_1) | instskip(NEXT) | instid1(VALU_DEP_3)
	v_add_f64_e32 v[58:59], v[58:59], v[56:57]
	v_add_f64_e32 v[56:57], v[64:65], v[62:63]
	v_fma_f64 v[62:63], v[78:79], s[30:31], v[156:157]
	v_fma_f64 v[64:65], v[80:81], s[34:35], v[158:159]
	s_delay_alu instid0(VALU_DEP_2) | instskip(NEXT) | instid1(VALU_DEP_2)
	v_add_f64_e32 v[62:63], v[62:63], v[66:67]
	v_add_f64_e32 v[60:61], v[64:65], v[60:61]
	v_fma_f64 v[64:65], v[82:83], s[40:41], v[164:165]
	v_fma_f64 v[66:67], v[116:117], s[14:15], v[190:191]
	s_delay_alu instid0(VALU_DEP_2) | instskip(SKIP_1) | instid1(VALU_DEP_1)
	v_add_f64_e32 v[62:63], v[64:65], v[62:63]
	v_fma_f64 v[64:65], v[84:85], s[0:1], v[170:171]
	v_add_f64_e32 v[60:61], v[64:65], v[60:61]
	v_fma_f64 v[64:65], v[86:87], s[6:7], v[172:173]
	s_delay_alu instid0(VALU_DEP_1) | instskip(SKIP_1) | instid1(VALU_DEP_1)
	v_add_f64_e32 v[62:63], v[64:65], v[62:63]
	v_fma_f64 v[64:65], v[88:89], s[42:43], v[174:175]
	v_add_f64_e32 v[60:61], v[64:65], v[60:61]
	v_fma_f64 v[64:65], v[92:93], s[28:29], v[176:177]
	s_delay_alu instid0(VALU_DEP_1) | instskip(SKIP_1) | instid1(VALU_DEP_1)
	v_add_f64_e32 v[62:63], v[64:65], v[62:63]
	v_fma_f64 v[64:65], v[98:99], s[36:37], v[178:179]
	v_add_f64_e32 v[60:61], v[64:65], v[60:61]
	v_fma_f64 v[64:65], v[102:103], s[38:39], v[180:181]
	s_delay_alu instid0(VALU_DEP_1) | instskip(SKIP_1) | instid1(VALU_DEP_1)
	v_add_f64_e32 v[62:63], v[64:65], v[62:63]
	v_fma_f64 v[64:65], v[104:105], s[18:19], v[182:183]
	v_add_f64_e32 v[60:61], v[64:65], v[60:61]
	v_fma_f64 v[64:65], v[108:109], s[22:23], v[186:187]
	s_delay_alu instid0(VALU_DEP_1) | instskip(SKIP_1) | instid1(VALU_DEP_1)
	v_add_f64_e32 v[64:65], v[64:65], v[62:63]
	v_fma_f64 v[62:63], v[112:113], s[10:11], v[188:189]
	v_add_f64_e32 v[62:63], v[62:63], v[60:61]
	s_delay_alu instid0(VALU_DEP_3) | instskip(SKIP_4) | instid1(VALU_DEP_4)
	v_add_f64_e32 v[60:61], v[66:67], v[64:65]
	v_fma_f64 v[64:65], v[76:77], s[52:53], v[70:71]
	v_fma_f64 v[66:67], v[78:79], s[22:23], v[72:73]
	;; [unrolled: 1-line block ×4, first 2 shown]
	v_add_f64_e32 v[64:65], v[64:65], v[184:185]
	s_delay_alu instid0(VALU_DEP_4) | instskip(SKIP_1) | instid1(VALU_DEP_3)
	v_add_f64_e32 v[66:67], v[66:67], v[68:69]
	v_fma_f64 v[68:69], v[84:85], s[34:35], v[136:137]
	v_add_f64_e32 v[64:65], v[70:71], v[64:65]
	v_fma_f64 v[70:71], v[86:87], s[40:41], v[138:139]
	s_delay_alu instid0(VALU_DEP_4) | instskip(SKIP_1) | instid1(VALU_DEP_4)
	v_add_f64_e32 v[66:67], v[72:73], v[66:67]
	v_fma_f64 v[72:73], v[88:89], s[10:11], v[140:141]
	v_add_f64_e32 v[64:65], v[68:69], v[64:65]
	v_fma_f64 v[68:69], v[92:93], s[14:15], v[142:143]
	s_delay_alu instid0(VALU_DEP_4) | instskip(SKIP_1) | instid1(VALU_DEP_4)
	;; [unrolled: 5-line block ×4, first 2 shown]
	v_add_f64_e32 v[66:67], v[72:73], v[66:67]
	v_fma_f64 v[72:73], v[112:113], s[36:37], v[152:153]
	v_add_f64_e32 v[64:65], v[68:69], v[64:65]
	v_fma_f64 v[68:69], v[116:117], s[38:39], v[154:155]
	s_delay_alu instid0(VALU_DEP_4) | instskip(NEXT) | instid1(VALU_DEP_3)
	v_add_f64_e32 v[70:71], v[70:71], v[66:67]
	v_add_f64_e32 v[66:67], v[72:73], v[64:65]
	s_delay_alu instid0(VALU_DEP_2) | instskip(SKIP_1) | instid1(VALU_DEP_1)
	v_add_f64_e32 v[64:65], v[68:69], v[70:71]
	v_mul_lo_u16 v68, v224, 17
	v_and_b32_e32 v68, 0xffff, v68
	s_delay_alu instid0(VALU_DEP_1)
	v_lshlrev_b32_e32 v68, 4, v68
	ds_store_b128 v68, v[4:7]
	ds_store_b128 v68, v[20:23] offset:16
	ds_store_b128 v68, v[24:27] offset:32
	;; [unrolled: 1-line block ×16, first 2 shown]
.LBB0_7:
	s_or_b32 exec_lo, exec_lo, s33
	v_and_b32_e32 v7, 0xff, v224
	v_add_nc_u16 v4, v224, 0x77
	s_load_b128 s[4:7], s[4:5], 0x0
	global_wb scope:SCOPE_SE
	s_wait_dscnt 0x0
	s_wait_kmcnt 0x0
	s_barrier_signal -1
	v_mul_lo_u16 v0, 0xf1, v7
	s_barrier_wait -1
	global_inv scope:SCOPE_SE
	v_and_b32_e32 v5, 0xff, v4
	v_add_co_u32 v16, null, 0xee, v224
	v_lshrrev_b16 v8, 12, v0
	s_mov_b32 s0, 0xe8584caa
	s_mov_b32 s1, 0x3febb67a
	s_delay_alu instid0(VALU_DEP_2)
	v_and_b32_e32 v6, 0xffff, v16
	s_mov_b32 s11, 0xbfebb67a
	v_mul_lo_u16 v0, v8, 17
	s_wait_alu 0xfffe
	s_mov_b32 s10, s0
	v_and_b32_e32 v8, 0xffff, v8
	s_mov_b32 s14, 0x134454ff
	s_mov_b32 s15, 0x3fee6f0e
	v_sub_nc_u16 v0, v224, v0
	s_mov_b32 s17, 0xbfee6f0e
	v_mul_u32_u24_e32 v8, 51, v8
	s_wait_alu 0xfffe
	s_mov_b32 s16, s14
	s_mov_b32 s18, 0x372fe950
	v_and_b32_e32 v9, 0xff, v0
	s_mov_b32 s19, 0x3fd3c6ef
                                        ; implicit-def: $vgpr172_vgpr173
                                        ; implicit-def: $vgpr176_vgpr177
	s_delay_alu instid0(VALU_DEP_1)
	v_lshlrev_b32_e32 v0, 5, v9
	v_add_lshl_u32 v8, v8, v9, 4
	s_clause 0x1
	global_load_b128 v[62:65], v0, s[2:3]
	global_load_b128 v[28:31], v0, s[2:3] offset:16
	v_mul_lo_u16 v0, 0xf1, v5
	s_delay_alu instid0(VALU_DEP_1) | instskip(NEXT) | instid1(VALU_DEP_1)
	v_lshrrev_b16 v10, 12, v0
	v_mul_lo_u16 v0, v10, 17
	s_delay_alu instid0(VALU_DEP_1) | instskip(NEXT) | instid1(VALU_DEP_1)
	v_sub_nc_u16 v0, v4, v0
	v_and_b32_e32 v11, 0xff, v0
	s_delay_alu instid0(VALU_DEP_1) | instskip(SKIP_4) | instid1(VALU_DEP_1)
	v_lshlrev_b32_e32 v0, 5, v11
	s_clause 0x1
	global_load_b128 v[58:61], v0, s[2:3]
	global_load_b128 v[92:95], v0, s[2:3] offset:16
	v_mul_u32_u24_e32 v0, 0xf0f1, v6
	v_lshrrev_b32_e32 v12, 20, v0
	s_delay_alu instid0(VALU_DEP_1) | instskip(NEXT) | instid1(VALU_DEP_1)
	v_mul_lo_u16 v0, v12, 17
	v_sub_nc_u16 v13, v16, v0
	s_delay_alu instid0(VALU_DEP_1) | instskip(NEXT) | instid1(VALU_DEP_1)
	v_lshlrev_b16 v0, 1, v13
	v_and_b32_e32 v0, 0xffff, v0
	s_delay_alu instid0(VALU_DEP_1) | instskip(SKIP_4) | instid1(VALU_DEP_1)
	v_lshlrev_b32_e32 v0, 4, v0
	s_clause 0x1
	global_load_b128 v[24:27], v0, s[2:3]
	global_load_b128 v[74:77], v0, s[2:3] offset:16
	v_and_b32_e32 v0, 0xffff, v224
	v_lshlrev_b32_e32 v252, 4, v0
	ds_load_b128 v[20:23], v252 offset:9520
	ds_load_b128 v[0:3], v252 offset:19040
	;; [unrolled: 1-line block ×5, first 2 shown]
	s_wait_loadcnt_dscnt 0x504
	v_mul_f64_e32 v[14:15], v[22:23], v[64:65]
	v_mul_f64_e32 v[17:18], v[20:21], v[64:65]
	s_wait_loadcnt_dscnt 0x403
	v_mul_f64_e32 v[52:53], v[2:3], v[30:31]
	v_mul_f64_e32 v[54:55], v[0:1], v[30:31]
	s_clause 0x1
	scratch_store_b128 off, v[62:65], off offset:372
	scratch_store_b128 off, v[28:31], off offset:324
	s_wait_loadcnt 0x3
	scratch_store_b128 off, v[58:61], off offset:340 ; 16-byte Folded Spill
	v_fma_f64 v[14:15], v[20:21], v[62:63], -v[14:15]
	v_fma_f64 v[21:22], v[22:23], v[62:63], v[17:18]
	ds_load_b128 v[17:20], v252 offset:13328
	s_wait_dscnt 0x2
	v_mul_f64_e32 v[56:57], v[50:51], v[60:61]
	v_fma_f64 v[52:53], v[0:1], v[28:29], -v[52:53]
	v_mul_f64_e32 v[0:1], v[48:49], v[60:61]
	v_fma_f64 v[54:55], v[2:3], v[28:29], v[54:55]
	s_wait_loadcnt_dscnt 0x201
	v_mul_f64_e32 v[2:3], v[38:39], v[94:95]
	s_wait_loadcnt 0x1
	scratch_store_b128 off, v[24:27], off offset:28 ; 16-byte Folded Spill
	v_fma_f64 v[56:57], v[48:49], v[58:59], -v[56:57]
	s_wait_dscnt 0x0
	v_mul_f64_e32 v[48:49], v[19:20], v[26:27]
	v_fma_f64 v[58:59], v[50:51], v[58:59], v[0:1]
	v_mul_f64_e32 v[0:1], v[36:37], v[94:95]
	v_fma_f64 v[60:61], v[36:37], v[92:93], -v[2:3]
	s_delay_alu instid0(VALU_DEP_4) | instskip(NEXT) | instid1(VALU_DEP_3)
	v_fma_f64 v[68:69], v[17:18], v[24:25], -v[48:49]
	v_fma_f64 v[62:63], v[38:39], v[92:93], v[0:1]
	v_mul_f64_e32 v[0:1], v[17:18], v[26:27]
	s_delay_alu instid0(VALU_DEP_1)
	v_fma_f64 v[70:71], v[19:20], v[24:25], v[0:1]
	ds_load_b128 v[0:3], v252 offset:22848
	ds_load_b128 v[17:20], v252 offset:24752
	s_wait_loadcnt 0x0
	scratch_store_b128 off, v[74:77], off offset:388 ; 16-byte Folded Spill
	s_wait_dscnt 0x1
	v_mul_f64_e32 v[36:37], v[2:3], v[76:77]
	s_delay_alu instid0(VALU_DEP_1) | instskip(SKIP_1) | instid1(VALU_DEP_1)
	v_fma_f64 v[72:73], v[0:1], v[74:75], -v[36:37]
	v_mul_f64_e32 v[0:1], v[0:1], v[76:77]
	v_fma_f64 v[74:75], v[2:3], v[74:75], v[0:1]
	v_add_co_u32 v0, null, 0x165, v224
	s_delay_alu instid0(VALU_DEP_1) | instskip(NEXT) | instid1(VALU_DEP_1)
	v_and_b32_e32 v1, 0xffff, v0
	v_mul_u32_u24_e32 v1, 0xf0f1, v1
	s_delay_alu instid0(VALU_DEP_1) | instskip(NEXT) | instid1(VALU_DEP_1)
	v_lshrrev_b32_e32 v23, 20, v1
	v_mul_lo_u16 v1, v23, 17
	s_delay_alu instid0(VALU_DEP_1) | instskip(NEXT) | instid1(VALU_DEP_1)
	v_sub_nc_u16 v24, v0, v1
	v_lshlrev_b16 v0, 1, v24
	s_delay_alu instid0(VALU_DEP_1) | instskip(NEXT) | instid1(VALU_DEP_1)
	v_and_b32_e32 v0, 0xffff, v0
	v_lshlrev_b32_e32 v0, 4, v0
	s_clause 0x1
	global_load_b128 v[64:67], v0, s[2:3]
	global_load_b128 v[25:28], v0, s[2:3] offset:16
	ds_load_b128 v[0:3], v252 offset:15232
	ds_load_b128 v[36:39], v252 offset:17136
	s_wait_loadcnt_dscnt 0x101
	v_mul_f64_e32 v[48:49], v[2:3], v[66:67]
	scratch_store_b128 off, v[64:67], off offset:168 ; 16-byte Folded Spill
	s_wait_loadcnt 0x0
	scratch_store_b128 off, v[25:28], off offset:152 ; 16-byte Folded Spill
	v_fma_f64 v[76:77], v[0:1], v[64:65], -v[48:49]
	v_mul_f64_e32 v[0:1], v[0:1], v[66:67]
	s_delay_alu instid0(VALU_DEP_1) | instskip(SKIP_1) | instid1(VALU_DEP_1)
	v_fma_f64 v[78:79], v[2:3], v[64:65], v[0:1]
	v_mul_f64_e32 v[0:1], v[19:20], v[27:28]
	v_fma_f64 v[80:81], v[17:18], v[25:26], -v[0:1]
	v_mul_f64_e32 v[0:1], v[17:18], v[27:28]
	s_delay_alu instid0(VALU_DEP_1) | instskip(SKIP_1) | instid1(VALU_DEP_1)
	v_fma_f64 v[82:83], v[19:20], v[25:26], v[0:1]
	v_add_co_u32 v0, null, 0x1dc, v224
	v_and_b32_e32 v1, 0xffff, v0
	s_delay_alu instid0(VALU_DEP_1) | instskip(NEXT) | instid1(VALU_DEP_1)
	v_mul_u32_u24_e32 v1, 0xf0f1, v1
	v_lshrrev_b32_e32 v25, 20, v1
	s_delay_alu instid0(VALU_DEP_1) | instskip(NEXT) | instid1(VALU_DEP_1)
	v_mul_lo_u16 v1, v25, 17
	v_sub_nc_u16 v26, v0, v1
	s_delay_alu instid0(VALU_DEP_1) | instskip(NEXT) | instid1(VALU_DEP_1)
	v_lshlrev_b16 v0, 1, v26
	v_and_b32_e32 v0, 0xffff, v0
	s_delay_alu instid0(VALU_DEP_1)
	v_lshlrev_b32_e32 v0, 4, v0
	s_clause 0x1
	global_load_b128 v[17:20], v0, s[2:3]
	global_load_b128 v[27:30], v0, s[2:3] offset:16
	s_wait_loadcnt_dscnt 0x100
	v_mul_f64_e32 v[0:1], v[38:39], v[19:20]
	scratch_store_b128 off, v[17:20], off offset:200 ; 16-byte Folded Spill
	s_wait_loadcnt 0x0
	scratch_store_b128 off, v[27:30], off offset:184 ; 16-byte Folded Spill
	v_fma_f64 v[84:85], v[36:37], v[17:18], -v[0:1]
	v_mul_f64_e32 v[0:1], v[36:37], v[19:20]
	v_add_f64_e32 v[36:37], v[14:15], v[52:53]
	s_delay_alu instid0(VALU_DEP_2) | instskip(SKIP_3) | instid1(VALU_DEP_1)
	v_fma_f64 v[86:87], v[38:39], v[17:18], v[0:1]
	ds_load_b128 v[0:3], v252 offset:26656
	s_wait_dscnt 0x0
	v_mul_f64_e32 v[17:18], v[2:3], v[29:30]
	v_fma_f64 v[88:89], v[0:1], v[27:28], -v[17:18]
	v_mul_f64_e32 v[0:1], v[0:1], v[29:30]
	s_delay_alu instid0(VALU_DEP_1)
	v_fma_f64 v[90:91], v[2:3], v[27:28], v[0:1]
	ds_load_b128 v[0:3], v252
	ds_load_b128 v[17:20], v252 offset:1904
	s_wait_dscnt 0x1
	v_fma_f64 v[38:39], v[36:37], -0.5, v[0:1]
	v_add_f64_e32 v[36:37], v[21:22], v[54:55]
	v_add_f64_e32 v[0:1], v[0:1], v[14:15]
	v_add_f64_e64 v[14:15], v[14:15], -v[52:53]
	s_delay_alu instid0(VALU_DEP_3) | instskip(SKIP_3) | instid1(VALU_DEP_3)
	v_fma_f64 v[50:51], v[36:37], -0.5, v[2:3]
	v_add_f64_e32 v[2:3], v[2:3], v[21:22]
	v_add_f64_e64 v[21:22], v[21:22], -v[54:55]
	v_add_f64_e32 v[0:1], v[0:1], v[52:53]
	v_add_f64_e32 v[2:3], v[2:3], v[54:55]
	s_delay_alu instid0(VALU_DEP_3)
	v_fma_f64 v[36:37], v[21:22], s[0:1], v[38:39]
	v_fma_f64 v[48:49], v[21:22], s[10:11], v[38:39]
	;; [unrolled: 1-line block ×4, first 2 shown]
	v_add_f64_e32 v[14:15], v[56:57], v[60:61]
	v_add_f64_e32 v[21:22], v[58:59], v[62:63]
	v_add_f64_e64 v[54:55], v[58:59], -v[62:63]
	s_wait_dscnt 0x0
	s_delay_alu instid0(VALU_DEP_3) | instskip(NEXT) | instid1(VALU_DEP_3)
	v_fma_f64 v[14:15], v[14:15], -0.5, v[17:18]
	v_fma_f64 v[21:22], v[21:22], -0.5, v[19:20]
	v_add_f64_e32 v[19:20], v[19:20], v[58:59]
	v_add_f64_e64 v[58:59], v[56:57], -v[60:61]
	v_add_f64_e32 v[17:18], v[17:18], v[56:57]
	v_fma_f64 v[52:53], v[54:55], s[0:1], v[14:15]
	v_fma_f64 v[56:57], v[54:55], s[10:11], v[14:15]
	v_add_f64_e32 v[19:20], v[19:20], v[62:63]
	v_fma_f64 v[54:55], v[58:59], s[10:11], v[21:22]
	v_fma_f64 v[58:59], v[58:59], s[0:1], v[21:22]
	v_add_f64_e32 v[21:22], v[70:71], v[74:75]
	v_add_f64_e32 v[17:18], v[17:18], v[60:61]
	ds_load_b128 v[60:63], v252 offset:3808
	ds_load_b128 v[64:67], v252 offset:5712
	v_add_f64_e32 v[14:15], v[68:69], v[72:73]
	global_wb scope:SCOPE_SE
	s_wait_storecnt_dscnt 0x0
	s_barrier_signal -1
	s_barrier_wait -1
	global_inv scope:SCOPE_SE
	ds_store_b128 v8, v[0:3]
	ds_store_b128 v8, v[36:39] offset:272
	v_and_b32_e32 v0, 0xffff, v10
	scratch_store_b32 off, v8, off offset:224 ; 4-byte Folded Spill
	ds_store_b128 v8, v[48:51] offset:544
	v_mad_u16 v2, v25, 51, v26
	v_mul_u32_u24_e32 v0, 51, v0
	s_delay_alu instid0(VALU_DEP_2) | instskip(NEXT) | instid1(VALU_DEP_2)
	v_and_b32_e32 v2, 0xffff, v2
	v_add_lshl_u32 v0, v0, v11, 4
	ds_store_b128 v0, v[17:20]
	ds_store_b128 v0, v[52:55] offset:272
	v_fma_f64 v[21:22], v[21:22], -0.5, v[62:63]
	v_add_f64_e32 v[62:63], v[62:63], v[70:71]
	v_fma_f64 v[14:15], v[14:15], -0.5, v[60:61]
	v_add_f64_e32 v[60:61], v[60:61], v[68:69]
	v_add_f64_e64 v[70:71], v[70:71], -v[74:75]
	scratch_store_b32 off, v0, off offset:220 ; 4-byte Folded Spill
	ds_store_b128 v0, v[56:59] offset:544
	v_mad_u16 v0, v12, 51, v13
	v_lshlrev_b32_e32 v3, 4, v2
	s_delay_alu instid0(VALU_DEP_2) | instskip(NEXT) | instid1(VALU_DEP_1)
	v_and_b32_e32 v0, 0xffff, v0
	v_lshlrev_b32_e32 v0, 4, v0
	v_add_f64_e32 v[62:63], v[62:63], v[74:75]
	v_add_f64_e64 v[74:75], v[68:69], -v[72:73]
	v_add_f64_e32 v[60:61], v[60:61], v[72:73]
	v_fma_f64 v[68:69], v[70:71], s[0:1], v[14:15]
	v_fma_f64 v[72:73], v[70:71], s[10:11], v[14:15]
	v_add_f64_e32 v[14:15], v[76:77], v[80:81]
	v_fma_f64 v[70:71], v[74:75], s[10:11], v[21:22]
	v_fma_f64 v[74:75], v[74:75], s[0:1], v[21:22]
	v_add_f64_e32 v[21:22], v[78:79], v[82:83]
	ds_store_b128 v0, v[60:63]
	ds_store_b128 v0, v[68:71] offset:272
	v_fma_f64 v[14:15], v[14:15], -0.5, v[64:65]
	v_add_f64_e32 v[64:65], v[64:65], v[76:77]
	v_fma_f64 v[21:22], v[21:22], -0.5, v[66:67]
	v_add_f64_e32 v[66:67], v[66:67], v[78:79]
	v_add_f64_e64 v[78:79], v[78:79], -v[82:83]
	scratch_store_b32 off, v0, off offset:216 ; 4-byte Folded Spill
	ds_store_b128 v0, v[72:75] offset:544
	v_mad_u16 v0, v23, 51, v24
	s_delay_alu instid0(VALU_DEP_1) | instskip(NEXT) | instid1(VALU_DEP_1)
	v_and_b32_e32 v0, 0xffff, v0
	v_lshlrev_b32_e32 v0, 4, v0
	v_add_f64_e32 v[64:65], v[64:65], v[80:81]
	v_add_f64_e32 v[66:67], v[66:67], v[82:83]
	v_add_f64_e64 v[82:83], v[76:77], -v[80:81]
	v_fma_f64 v[76:77], v[78:79], s[0:1], v[14:15]
	v_fma_f64 v[80:81], v[78:79], s[10:11], v[14:15]
	v_add_f64_e32 v[14:15], v[84:85], v[88:89]
	s_delay_alu instid0(VALU_DEP_4) | instskip(SKIP_2) | instid1(VALU_DEP_4)
	v_fma_f64 v[78:79], v[82:83], s[10:11], v[21:22]
	v_fma_f64 v[82:83], v[82:83], s[0:1], v[21:22]
	v_add_f64_e32 v[21:22], v[86:87], v[90:91]
	v_fma_f64 v[14:15], v[14:15], -0.5, v[32:33]
	v_add_f64_e32 v[32:33], v[32:33], v[84:85]
	ds_store_b128 v0, v[64:67]
	ds_store_b128 v0, v[76:79] offset:272
	scratch_store_b32 off, v0, off offset:148 ; 4-byte Folded Spill
	ds_store_b128 v0, v[80:83] offset:544
	v_fma_f64 v[21:22], v[21:22], -0.5, v[34:35]
	v_add_f64_e32 v[34:35], v[34:35], v[86:87]
	v_add_f64_e64 v[86:87], v[86:87], -v[90:91]
	v_add_f64_e32 v[32:33], v[32:33], v[88:89]
	v_mul_lo_u16 v0, 0xa1, v7
	s_delay_alu instid0(VALU_DEP_1) | instskip(NEXT) | instid1(VALU_DEP_1)
	v_lshrrev_b16 v1, 13, v0
	v_mul_lo_u16 v0, v1, 51
	v_and_b32_e32 v1, 0xffff, v1
	s_delay_alu instid0(VALU_DEP_2) | instskip(NEXT) | instid1(VALU_DEP_2)
	v_sub_nc_u16 v0, v224, v0
	v_mul_u32_u24_e32 v1, 0xff, v1
	s_delay_alu instid0(VALU_DEP_2) | instskip(NEXT) | instid1(VALU_DEP_1)
	v_and_b32_e32 v0, 0xff, v0
	v_lshlrev_b32_e32 v2, 6, v0
	s_delay_alu instid0(VALU_DEP_3) | instskip(SKIP_4) | instid1(VALU_DEP_3)
	v_add_lshl_u32 v0, v1, v0, 4
	v_add_f64_e32 v[34:35], v[34:35], v[90:91]
	v_add_f64_e64 v[90:91], v[84:85], -v[88:89]
	v_fma_f64 v[84:85], v[86:87], s[0:1], v[14:15]
	v_fma_f64 v[88:89], v[86:87], s[10:11], v[14:15]
	;; [unrolled: 1-line block ×4, first 2 shown]
	ds_store_b128 v3, v[32:35]
	ds_store_b128 v3, v[84:87] offset:272
	scratch_store_b32 off, v3, off offset:140 ; 4-byte Folded Spill
	ds_store_b128 v3, v[88:91] offset:544
	global_wb scope:SCOPE_SE
	s_wait_storecnt_dscnt 0x0
	s_barrier_signal -1
	s_barrier_wait -1
	global_inv scope:SCOPE_SE
	s_clause 0x1
	global_load_b128 v[17:20], v2, s[2:3] offset:544
	global_load_b128 v[112:115], v2, s[2:3] offset:560
	ds_load_b128 v[32:35], v252 offset:5712
	ds_load_b128 v[7:10], v252 offset:3808
	s_mov_b32 s11, 0xbfe2cf23
	s_wait_loadcnt_dscnt 0x101
	v_mul_f64_e32 v[11:12], v[34:35], v[19:20]
	scratch_store_b128 off, v[17:20], off offset:356 ; 16-byte Folded Spill
	v_fma_f64 v[21:22], v[32:33], v[17:18], -v[11:12]
	v_mul_f64_e32 v[11:12], v[32:33], v[19:20]
	s_delay_alu instid0(VALU_DEP_1)
	v_fma_f64 v[48:49], v[34:35], v[17:18], v[11:12]
	ds_load_b128 v[11:14], v252 offset:11424
	ds_load_b128 v[17:20], v252 offset:13328
	s_clause 0x1
	global_load_b128 v[74:77], v2, s[2:3] offset:592
	global_load_b128 v[70:73], v2, s[2:3] offset:576
	s_wait_loadcnt_dscnt 0x201
	v_mul_f64_e32 v[32:33], v[13:14], v[114:115]
	s_delay_alu instid0(VALU_DEP_1) | instskip(SKIP_1) | instid1(VALU_DEP_1)
	v_fma_f64 v[50:51], v[11:12], v[112:113], -v[32:33]
	v_mul_f64_e32 v[11:12], v[11:12], v[114:115]
	v_fma_f64 v[52:53], v[13:14], v[112:113], v[11:12]
	ds_load_b128 v[11:14], v252 offset:22848
	ds_load_b128 v[32:35], v252 offset:24752
	s_wait_loadcnt_dscnt 0x101
	v_mul_f64_e32 v[2:3], v[13:14], v[76:77]
	s_delay_alu instid0(VALU_DEP_1) | instskip(SKIP_1) | instid1(VALU_DEP_2)
	v_fma_f64 v[54:55], v[11:12], v[74:75], -v[2:3]
	v_mul_f64_e32 v[2:3], v[11:12], v[76:77]
	v_add_f64_e64 v[154:155], v[21:22], -v[54:55]
	s_delay_alu instid0(VALU_DEP_2)
	v_fma_f64 v[96:97], v[13:14], v[74:75], v[2:3]
	ds_load_b128 v[11:14], v252 offset:17136
	ds_load_b128 v[36:39], v252 offset:15232
	s_wait_loadcnt_dscnt 0x1
	v_mul_f64_e32 v[2:3], v[13:14], v[72:73]
	v_add_f64_e64 v[150:151], v[48:49], -v[96:97]
	s_delay_alu instid0(VALU_DEP_2) | instskip(SKIP_1) | instid1(VALU_DEP_2)
	v_fma_f64 v[98:99], v[11:12], v[70:71], -v[2:3]
	v_mul_f64_e32 v[2:3], v[11:12], v[72:73]
	v_add_f64_e64 v[156:157], v[50:51], -v[98:99]
	s_delay_alu instid0(VALU_DEP_2) | instskip(SKIP_1) | instid1(VALU_DEP_1)
	v_fma_f64 v[116:117], v[13:14], v[70:71], v[2:3]
	v_mul_lo_u16 v2, 0xa1, v5
	v_lshrrev_b16 v15, 13, v2
	s_delay_alu instid0(VALU_DEP_1) | instskip(NEXT) | instid1(VALU_DEP_1)
	v_mul_lo_u16 v2, v15, 51
	v_sub_nc_u16 v2, v4, v2
	s_delay_alu instid0(VALU_DEP_1) | instskip(NEXT) | instid1(VALU_DEP_1)
	v_and_b32_e32 v23, 0xff, v2
	v_lshlrev_b32_e32 v24, 6, v23
	s_clause 0x1
	global_load_b128 v[25:28], v24, s[2:3] offset:544
	global_load_b128 v[82:85], v24, s[2:3] offset:560
	ds_load_b128 v[2:5], v252 offset:7616
	ds_load_b128 v[11:14], v252 offset:9520
	v_add_f64_e64 v[152:153], v[52:53], -v[116:117]
	s_wait_loadcnt_dscnt 0x101
	v_mul_f64_e32 v[68:69], v[4:5], v[27:28]
	scratch_store_b128 off, v[25:28], off offset:44 ; 16-byte Folded Spill
	v_fma_f64 v[118:119], v[2:3], v[25:26], -v[68:69]
	v_mul_f64_e32 v[2:3], v[2:3], v[27:28]
	s_delay_alu instid0(VALU_DEP_1)
	v_fma_f64 v[120:121], v[4:5], v[25:26], v[2:3]
	s_clause 0x1
	global_load_b128 v[25:28], v24, s[2:3] offset:576
	global_load_b128 v[86:89], v24, s[2:3] offset:592
	s_wait_loadcnt 0x2
	v_mul_f64_e32 v[2:3], v[19:20], v[84:85]
	s_delay_alu instid0(VALU_DEP_1) | instskip(SKIP_1) | instid1(VALU_DEP_1)
	v_fma_f64 v[122:123], v[17:18], v[82:83], -v[2:3]
	v_mul_f64_e32 v[2:3], v[17:18], v[84:85]
	v_fma_f64 v[124:125], v[19:20], v[82:83], v[2:3]
	ds_load_b128 v[2:5], v252 offset:19040
	ds_load_b128 v[17:20], v252 offset:20944
	s_wait_loadcnt_dscnt 0x101
	v_mul_f64_e32 v[80:81], v[4:5], v[27:28]
	scratch_store_b128 off, v[25:28], off offset:60 ; 16-byte Folded Spill
	v_fma_f64 v[126:127], v[2:3], v[25:26], -v[80:81]
	v_mul_f64_e32 v[2:3], v[2:3], v[27:28]
	s_delay_alu instid0(VALU_DEP_1) | instskip(SKIP_2) | instid1(VALU_DEP_1)
	v_fma_f64 v[128:129], v[4:5], v[25:26], v[2:3]
	s_wait_loadcnt 0x0
	v_mul_f64_e32 v[2:3], v[34:35], v[88:89]
	v_fma_f64 v[130:131], v[32:33], v[86:87], -v[2:3]
	v_mul_f64_e32 v[2:3], v[32:33], v[88:89]
	s_delay_alu instid0(VALU_DEP_1) | instskip(SKIP_1) | instid1(VALU_DEP_1)
	v_fma_f64 v[132:133], v[34:35], v[86:87], v[2:3]
	v_mul_u32_u24_e32 v2, 0xa0a1, v6
	v_lshrrev_b32_e32 v24, 21, v2
	s_delay_alu instid0(VALU_DEP_1) | instskip(NEXT) | instid1(VALU_DEP_1)
	v_mul_lo_u16 v2, v24, 51
	v_sub_nc_u16 v25, v16, v2
	s_delay_alu instid0(VALU_DEP_1) | instskip(NEXT) | instid1(VALU_DEP_1)
	v_lshlrev_b16 v2, 6, v25
	v_and_b32_e32 v2, 0xffff, v2
	s_delay_alu instid0(VALU_DEP_1)
	v_add_co_u32 v2, s0, s2, v2
	s_wait_alu 0xf1ff
	v_add_co_ci_u32_e64 v3, null, s3, 0, s0
	s_clause 0x1
	global_load_b128 v[30:33], v[2:3], off offset:544
	global_load_b128 v[26:29], v[2:3], off offset:560
	s_mov_b32 s0, 0x4755a5e
	s_mov_b32 s1, 0x3fe2cf23
	s_wait_alu 0xfffe
	s_mov_b32 s10, s0
	s_wait_loadcnt 0x1
	v_mul_f64_e32 v[4:5], v[13:14], v[32:33]
	scratch_store_b128 off, v[30:33], off offset:92 ; 16-byte Folded Spill
	s_wait_loadcnt 0x0
	scratch_store_b128 off, v[26:29], off offset:76 ; 16-byte Folded Spill
	v_fma_f64 v[134:135], v[11:12], v[30:31], -v[4:5]
	v_mul_f64_e32 v[4:5], v[11:12], v[32:33]
	s_delay_alu instid0(VALU_DEP_1) | instskip(SKIP_4) | instid1(VALU_DEP_1)
	v_fma_f64 v[136:137], v[13:14], v[30:31], v[4:5]
	s_clause 0x1
	global_load_b128 v[11:14], v[2:3], off offset:576
	global_load_b128 v[78:81], v[2:3], off offset:592
	v_mul_f64_e32 v[4:5], v[38:39], v[28:29]
	v_fma_f64 v[138:139], v[36:37], v[26:27], -v[4:5]
	v_mul_f64_e32 v[4:5], v[36:37], v[28:29]
	s_delay_alu instid0(VALU_DEP_1)
	v_fma_f64 v[140:141], v[38:39], v[26:27], v[4:5]
	s_wait_loadcnt_dscnt 0x100
	v_mul_f64_e32 v[2:3], v[19:20], v[13:14]
	scratch_store_b128 off, v[11:14], off offset:108 ; 16-byte Folded Spill
	v_fma_f64 v[142:143], v[17:18], v[11:12], -v[2:3]
	v_mul_f64_e32 v[2:3], v[17:18], v[13:14]
	v_add_f64_e32 v[17:18], v[50:51], v[98:99]
	s_delay_alu instid0(VALU_DEP_2) | instskip(SKIP_3) | instid1(VALU_DEP_1)
	v_fma_f64 v[144:145], v[19:20], v[11:12], v[2:3]
	ds_load_b128 v[2:5], v252 offset:26656
	s_wait_loadcnt_dscnt 0x0
	v_mul_f64_e32 v[11:12], v[4:5], v[80:81]
	v_fma_f64 v[146:147], v[2:3], v[78:79], -v[11:12]
	v_mul_f64_e32 v[2:3], v[2:3], v[80:81]
	s_delay_alu instid0(VALU_DEP_1) | instskip(SKIP_2) | instid1(VALU_DEP_1)
	v_fma_f64 v[148:149], v[4:5], v[78:79], v[2:3]
	v_add_f64_e64 v[2:3], v[21:22], -v[50:51]
	v_add_f64_e64 v[4:5], v[54:55], -v[98:99]
	v_add_f64_e32 v[32:33], v[2:3], v[4:5]
	v_add_f64_e64 v[2:3], v[48:49], -v[52:53]
	v_add_f64_e64 v[4:5], v[96:97], -v[116:117]
	s_delay_alu instid0(VALU_DEP_1)
	v_add_f64_e32 v[34:35], v[2:3], v[4:5]
	ds_load_b128 v[2:5], v252
	ds_load_b128 v[11:14], v252 offset:1904
	global_wb scope:SCOPE_SE
	s_wait_storecnt_dscnt 0x0
	s_barrier_signal -1
	s_barrier_wait -1
	global_inv scope:SCOPE_SE
	v_fma_f64 v[36:37], v[17:18], -0.5, v[2:3]
	v_add_f64_e32 v[17:18], v[52:53], v[116:117]
	s_delay_alu instid0(VALU_DEP_1) | instskip(NEXT) | instid1(VALU_DEP_3)
	v_fma_f64 v[38:39], v[17:18], -0.5, v[4:5]
	v_fma_f64 v[17:18], v[150:151], s[14:15], v[36:37]
	v_fma_f64 v[36:37], v[150:151], s[16:17], v[36:37]
	s_delay_alu instid0(VALU_DEP_3) | instskip(NEXT) | instid1(VALU_DEP_3)
	v_fma_f64 v[19:20], v[154:155], s[16:17], v[38:39]
	v_fma_f64 v[17:18], v[152:153], s[0:1], v[17:18]
	;; [unrolled: 1-line block ×3, first 2 shown]
	s_wait_alu 0xfffe
	s_delay_alu instid0(VALU_DEP_4) | instskip(NEXT) | instid1(VALU_DEP_4)
	v_fma_f64 v[36:37], v[152:153], s[10:11], v[36:37]
	v_fma_f64 v[19:20], v[156:157], s[10:11], v[19:20]
	s_delay_alu instid0(VALU_DEP_4) | instskip(NEXT) | instid1(VALU_DEP_4)
	v_fma_f64 v[17:18], v[32:33], s[18:19], v[17:18]
	v_fma_f64 v[38:39], v[156:157], s[0:1], v[38:39]
	s_delay_alu instid0(VALU_DEP_4) | instskip(SKIP_2) | instid1(VALU_DEP_4)
	v_fma_f64 v[32:33], v[32:33], s[18:19], v[36:37]
	v_add_f64_e32 v[36:37], v[21:22], v[54:55]
	v_fma_f64 v[19:20], v[34:35], s[18:19], v[19:20]
	v_fma_f64 v[34:35], v[34:35], s[18:19], v[38:39]
	v_add_f64_e32 v[38:39], v[48:49], v[96:97]
	s_delay_alu instid0(VALU_DEP_4) | instskip(SKIP_2) | instid1(VALU_DEP_4)
	v_fma_f64 v[36:37], v[36:37], -0.5, v[2:3]
	v_add_f64_e32 v[2:3], v[2:3], v[21:22]
	v_add_f64_e64 v[21:22], v[50:51], -v[21:22]
	v_fma_f64 v[38:39], v[38:39], -0.5, v[4:5]
	v_add_f64_e32 v[4:5], v[4:5], v[48:49]
	s_delay_alu instid0(VALU_DEP_4) | instskip(SKIP_2) | instid1(VALU_DEP_4)
	v_add_f64_e32 v[2:3], v[2:3], v[50:51]
	v_add_f64_e64 v[48:49], v[52:53], -v[48:49]
	v_add_f64_e64 v[50:51], v[98:99], -v[54:55]
	v_add_f64_e32 v[4:5], v[4:5], v[52:53]
	s_delay_alu instid0(VALU_DEP_4) | instskip(SKIP_1) | instid1(VALU_DEP_4)
	v_add_f64_e32 v[2:3], v[2:3], v[98:99]
	v_add_f64_e64 v[52:53], v[116:117], -v[96:97]
	v_add_f64_e32 v[21:22], v[21:22], v[50:51]
	s_delay_alu instid0(VALU_DEP_4) | instskip(NEXT) | instid1(VALU_DEP_4)
	v_add_f64_e32 v[4:5], v[4:5], v[116:117]
	v_add_f64_e32 v[2:3], v[2:3], v[54:55]
	v_fma_f64 v[54:55], v[152:153], s[16:17], v[36:37]
	v_fma_f64 v[36:37], v[152:153], s[14:15], v[36:37]
	v_add_f64_e32 v[50:51], v[48:49], v[52:53]
	v_add_f64_e64 v[152:153], v[124:125], -v[128:129]
	v_add_f64_e32 v[4:5], v[4:5], v[96:97]
	v_fma_f64 v[96:97], v[156:157], s[14:15], v[38:39]
	v_fma_f64 v[48:49], v[150:151], s[0:1], v[54:55]
	;; [unrolled: 1-line block ×4, first 2 shown]
	v_add_f64_e64 v[150:151], v[120:121], -v[132:133]
	v_add_f64_e64 v[156:157], v[122:123], -v[126:127]
	v_fma_f64 v[54:55], v[154:155], s[10:11], v[96:97]
	v_fma_f64 v[36:37], v[21:22], s[18:19], v[48:49]
	;; [unrolled: 1-line block ×3, first 2 shown]
	v_add_f64_e64 v[21:22], v[118:119], -v[122:123]
	v_add_f64_e64 v[52:53], v[130:131], -v[126:127]
	v_fma_f64 v[96:97], v[154:155], s[0:1], v[38:39]
	v_add_f64_e64 v[154:155], v[118:119], -v[130:131]
	v_fma_f64 v[38:39], v[50:51], s[18:19], v[54:55]
	v_add_f64_e64 v[54:55], v[132:133], -v[128:129]
	v_add_f64_e32 v[21:22], v[21:22], v[52:53]
	v_add_f64_e64 v[52:53], v[120:121], -v[124:125]
	v_fma_f64 v[50:51], v[50:51], s[18:19], v[96:97]
	ds_store_b128 v0, v[2:5]
	ds_store_b128 v0, v[17:20] offset:816
	ds_store_b128 v0, v[36:39] offset:1632
	;; [unrolled: 1-line block ×3, first 2 shown]
	scratch_store_b32 off, v0, off offset:144 ; 4-byte Folded Spill
	v_add_f64_e32 v[98:99], v[52:53], v[54:55]
	v_add_f64_e32 v[52:53], v[122:123], v[126:127]
	ds_store_b128 v0, v[32:35] offset:3264
	v_and_b32_e32 v0, 0xffff, v15
                                        ; implicit-def: $vgpr48_vgpr49
	s_delay_alu instid0(VALU_DEP_1) | instskip(NEXT) | instid1(VALU_DEP_1)
	v_mul_u32_u24_e32 v0, 0xff, v0
	v_add_lshl_u32 v91, v0, v23, 4
	v_mad_u16 v0, 0xff, v24, v25
	s_delay_alu instid0(VALU_DEP_1) | instskip(NEXT) | instid1(VALU_DEP_1)
	v_and_b32_e32 v0, 0xffff, v0
	v_lshlrev_b32_e32 v90, 4, v0
	v_fma_f64 v[96:97], v[52:53], -0.5, v[11:12]
	v_add_f64_e32 v[52:53], v[124:125], v[128:129]
	s_delay_alu instid0(VALU_DEP_1) | instskip(NEXT) | instid1(VALU_DEP_3)
	v_fma_f64 v[116:117], v[52:53], -0.5, v[13:14]
	v_fma_f64 v[52:53], v[150:151], s[14:15], v[96:97]
	v_fma_f64 v[96:97], v[150:151], s[16:17], v[96:97]
	s_delay_alu instid0(VALU_DEP_3) | instskip(SKIP_1) | instid1(VALU_DEP_4)
	v_fma_f64 v[54:55], v[154:155], s[16:17], v[116:117]
	v_fma_f64 v[116:117], v[154:155], s[14:15], v[116:117]
	;; [unrolled: 1-line block ×3, first 2 shown]
	s_delay_alu instid0(VALU_DEP_4) | instskip(NEXT) | instid1(VALU_DEP_4)
	v_fma_f64 v[96:97], v[152:153], s[10:11], v[96:97]
	v_fma_f64 v[54:55], v[156:157], s[10:11], v[54:55]
	s_delay_alu instid0(VALU_DEP_4) | instskip(NEXT) | instid1(VALU_DEP_4)
	v_fma_f64 v[116:117], v[156:157], s[0:1], v[116:117]
	v_fma_f64 v[52:53], v[21:22], s[18:19], v[52:53]
	s_delay_alu instid0(VALU_DEP_4) | instskip(SKIP_4) | instid1(VALU_DEP_4)
	v_fma_f64 v[96:97], v[21:22], s[18:19], v[96:97]
	v_add_f64_e32 v[21:22], v[118:119], v[130:131]
	v_fma_f64 v[54:55], v[98:99], s[18:19], v[54:55]
	v_fma_f64 v[98:99], v[98:99], s[18:19], v[116:117]
	v_add_f64_e32 v[116:117], v[120:121], v[132:133]
	v_fma_f64 v[21:22], v[21:22], -0.5, v[11:12]
	v_add_f64_e32 v[11:12], v[11:12], v[118:119]
	v_add_f64_e64 v[118:119], v[122:123], -v[118:119]
	s_delay_alu instid0(VALU_DEP_4) | instskip(SKIP_4) | instid1(VALU_DEP_4)
	v_fma_f64 v[116:117], v[116:117], -0.5, v[13:14]
	v_add_f64_e32 v[13:14], v[13:14], v[120:121]
	v_add_f64_e64 v[120:121], v[124:125], -v[120:121]
	v_add_f64_e32 v[11:12], v[11:12], v[122:123]
	v_add_f64_e64 v[122:123], v[126:127], -v[130:131]
	;; [unrolled: 2-line block ×3, first 2 shown]
	s_delay_alu instid0(VALU_DEP_4)
	v_add_f64_e32 v[11:12], v[11:12], v[126:127]
	v_fma_f64 v[126:127], v[152:153], s[16:17], v[21:22]
	v_fma_f64 v[21:22], v[152:153], s[14:15], v[21:22]
	v_add_f64_e32 v[122:123], v[118:119], v[122:123]
	v_add_f64_e64 v[152:153], v[136:137], -v[148:149]
	v_add_f64_e32 v[13:14], v[13:14], v[128:129]
	v_fma_f64 v[128:129], v[156:157], s[14:15], v[116:117]
	v_fma_f64 v[116:117], v[156:157], s[16:17], v[116:117]
	v_add_f64_e32 v[124:125], v[120:121], v[124:125]
	v_fma_f64 v[118:119], v[150:151], s[0:1], v[126:127]
	v_fma_f64 v[21:22], v[150:151], s[10:11], v[21:22]
	v_add_f64_e32 v[11:12], v[11:12], v[130:131]
	v_add_f64_e64 v[150:151], v[140:141], -v[144:145]
	v_add_f64_e64 v[156:157], v[134:135], -v[146:147]
	v_add_f64_e32 v[13:14], v[13:14], v[132:133]
	v_fma_f64 v[120:121], v[154:155], s[10:11], v[128:129]
	v_fma_f64 v[126:127], v[154:155], s[0:1], v[116:117]
	v_add_f64_e64 v[154:155], v[138:139], -v[142:143]
	v_fma_f64 v[116:117], v[122:123], s[18:19], v[118:119]
	s_delay_alu instid0(VALU_DEP_4)
	v_fma_f64 v[118:119], v[124:125], s[18:19], v[120:121]
	v_fma_f64 v[120:121], v[122:123], s[18:19], v[21:22]
	;; [unrolled: 1-line block ×3, first 2 shown]
	v_add_f64_e64 v[21:22], v[138:139], -v[134:135]
	v_add_f64_e64 v[124:125], v[142:143], -v[146:147]
	;; [unrolled: 1-line block ×3, first 2 shown]
	ds_store_b128 v91, v[11:14]
	ds_store_b128 v91, v[52:55] offset:816
	ds_store_b128 v91, v[116:119] offset:1632
	;; [unrolled: 1-line block ×4, first 2 shown]
                                        ; implicit-def: $vgpr52_vgpr53
	v_add_f64_e32 v[21:22], v[21:22], v[124:125]
	v_add_f64_e64 v[124:125], v[140:141], -v[136:137]
	s_delay_alu instid0(VALU_DEP_1) | instskip(SKIP_1) | instid1(VALU_DEP_1)
	v_add_f64_e32 v[130:131], v[124:125], v[126:127]
	v_add_f64_e32 v[124:125], v[134:135], v[146:147]
	v_fma_f64 v[128:129], v[124:125], -0.5, v[7:8]
	v_add_f64_e32 v[124:125], v[136:137], v[148:149]
	s_delay_alu instid0(VALU_DEP_1) | instskip(NEXT) | instid1(VALU_DEP_3)
	v_fma_f64 v[132:133], v[124:125], -0.5, v[9:10]
	v_fma_f64 v[124:125], v[150:151], s[16:17], v[128:129]
	v_fma_f64 v[128:129], v[150:151], s[14:15], v[128:129]
	s_delay_alu instid0(VALU_DEP_3) | instskip(SKIP_1) | instid1(VALU_DEP_4)
	v_fma_f64 v[126:127], v[154:155], s[14:15], v[132:133]
	v_fma_f64 v[132:133], v[154:155], s[16:17], v[132:133]
	;; [unrolled: 1-line block ×3, first 2 shown]
	s_delay_alu instid0(VALU_DEP_4) | instskip(NEXT) | instid1(VALU_DEP_4)
	v_fma_f64 v[128:129], v[152:153], s[10:11], v[128:129]
	v_fma_f64 v[126:127], v[156:157], s[10:11], v[126:127]
	s_delay_alu instid0(VALU_DEP_4) | instskip(NEXT) | instid1(VALU_DEP_4)
	v_fma_f64 v[132:133], v[156:157], s[0:1], v[132:133]
	v_fma_f64 v[124:125], v[21:22], s[18:19], v[124:125]
	s_delay_alu instid0(VALU_DEP_4) | instskip(SKIP_4) | instid1(VALU_DEP_4)
	v_fma_f64 v[128:129], v[21:22], s[18:19], v[128:129]
	v_add_f64_e32 v[21:22], v[138:139], v[142:143]
	v_fma_f64 v[126:127], v[130:131], s[18:19], v[126:127]
	v_fma_f64 v[130:131], v[130:131], s[18:19], v[132:133]
	v_add_f64_e32 v[132:133], v[140:141], v[144:145]
	v_fma_f64 v[21:22], v[21:22], -0.5, v[7:8]
	v_add_f64_e32 v[6:7], v[7:8], v[134:135]
	v_add_f64_e64 v[134:135], v[134:135], -v[138:139]
	s_delay_alu instid0(VALU_DEP_4) | instskip(SKIP_4) | instid1(VALU_DEP_4)
	v_fma_f64 v[132:133], v[132:133], -0.5, v[9:10]
	v_add_f64_e32 v[8:9], v[9:10], v[136:137]
	v_add_f64_e64 v[136:137], v[136:137], -v[140:141]
	v_add_f64_e32 v[6:7], v[6:7], v[138:139]
	v_add_f64_e64 v[138:139], v[146:147], -v[142:143]
	;; [unrolled: 2-line block ×3, first 2 shown]
	s_delay_alu instid0(VALU_DEP_4)
	v_add_f64_e32 v[6:7], v[6:7], v[142:143]
	v_fma_f64 v[142:143], v[152:153], s[14:15], v[21:22]
	v_fma_f64 v[21:22], v[152:153], s[16:17], v[21:22]
	v_add_f64_e32 v[138:139], v[134:135], v[138:139]
	v_add_f64_e32 v[8:9], v[8:9], v[144:145]
	v_fma_f64 v[144:145], v[156:157], s[16:17], v[132:133]
	v_fma_f64 v[132:133], v[156:157], s[14:15], v[132:133]
	v_add_f64_e32 v[136:137], v[136:137], v[140:141]
	v_fma_f64 v[134:135], v[150:151], s[0:1], v[142:143]
	v_fma_f64 v[21:22], v[150:151], s[10:11], v[21:22]
	v_add_f64_e32 v[6:7], v[6:7], v[146:147]
	v_add_f64_e32 v[8:9], v[8:9], v[148:149]
	v_fma_f64 v[140:141], v[154:155], s[10:11], v[144:145]
	v_fma_f64 v[142:143], v[154:155], s[0:1], v[132:133]
	v_cmp_gt_u16_e64 s0, 17, v224
	v_fma_f64 v[132:133], v[138:139], s[18:19], v[134:135]
	v_fma_f64 v[160:161], v[138:139], s[18:19], v[21:22]
	v_fma_f64 v[134:135], v[136:137], s[18:19], v[140:141]
	v_fma_f64 v[162:163], v[136:137], s[18:19], v[142:143]
	ds_store_b128 v90, v[6:9]
	ds_store_b128 v90, v[132:135] offset:816
	ds_store_b128 v90, v[124:127] offset:1632
	;; [unrolled: 1-line block ×4, first 2 shown]
	global_wb scope:SCOPE_SE
	s_wait_storecnt_dscnt 0x0
	s_barrier_signal -1
	s_barrier_wait -1
	global_inv scope:SCOPE_SE
	ds_load_b128 v[168:171], v252
	ds_load_b128 v[164:167], v252 offset:1904
	ds_load_b128 v[124:127], v252 offset:4080
	;; [unrolled: 1-line block ×13, first 2 shown]
	s_and_saveexec_b32 s1, s0
	s_cbranch_execz .LBB0_9
; %bb.8:
	ds_load_b128 v[160:163], v252 offset:3808
	ds_load_b128 v[40:43], v252 offset:7888
	;; [unrolled: 1-line block ×7, first 2 shown]
.LBB0_9:
	s_wait_alu 0xfffe
	s_or_b32 exec_lo, exec_lo, s1
	v_mad_co_u64_u32 v[17:18], null, 0x60, v224, s[2:3]
	s_mov_b32 s18, 0xe976ee23
	s_mov_b32 s19, 0xbfe11646
	s_mov_b32 s10, 0x429ad128
	s_mov_b32 s24, 0x37e14327
	s_mov_b32 s11, 0x3febfeb5
	s_mov_b32 s25, 0x3fe948f6
	s_clause 0x1
	global_load_b128 v[2:5], v[17:18], off offset:3808
	global_load_b128 v[6:9], v[17:18], off offset:3824
	s_mov_b32 s14, 0xaaaaaaaa
	s_mov_b32 s16, 0x5476071b
	;; [unrolled: 1-line block ×10, first 2 shown]
	s_wait_alu 0xfffe
	s_mov_b32 s28, s22
	s_mov_b32 s26, s16
	s_wait_loadcnt_dscnt 0x10b
	v_mul_f64_e32 v[0:1], v[126:127], v[4:5]
	scratch_store_b128 off, v[2:5], off offset:124 ; 16-byte Folded Spill
	s_wait_loadcnt 0x0
	scratch_store_b128 off, v[6:9], off offset:228 ; 16-byte Folded Spill
	v_fma_f64 v[196:197], v[124:125], v[2:3], -v[0:1]
	v_mul_f64_e32 v[0:1], v[124:125], v[4:5]
	s_delay_alu instid0(VALU_DEP_1) | instskip(SKIP_2) | instid1(VALU_DEP_1)
	v_fma_f64 v[198:199], v[126:127], v[2:3], v[0:1]
	s_wait_dscnt 0x9
	v_mul_f64_e32 v[0:1], v[122:123], v[8:9]
	v_fma_f64 v[200:201], v[120:121], v[6:7], -v[0:1]
	v_mul_f64_e32 v[0:1], v[120:121], v[8:9]
	s_delay_alu instid0(VALU_DEP_1)
	v_fma_f64 v[202:203], v[122:123], v[6:7], v[0:1]
	s_clause 0x1
	global_load_b128 v[2:5], v[17:18], off offset:3888
	global_load_b128 v[6:9], v[17:18], off offset:3872
	s_wait_loadcnt_dscnt 0x101
	v_mul_f64_e32 v[0:1], v[134:135], v[4:5]
	scratch_store_b128 off, v[2:5], off offset:244 ; 16-byte Folded Spill
	s_wait_loadcnt 0x0
	scratch_store_b128 off, v[6:9], off offset:260 ; 16-byte Folded Spill
	v_fma_f64 v[208:209], v[132:133], v[2:3], -v[0:1]
	v_mul_f64_e32 v[0:1], v[132:133], v[4:5]
	s_delay_alu instid0(VALU_DEP_1) | instskip(SKIP_1) | instid1(VALU_DEP_1)
	v_fma_f64 v[210:211], v[134:135], v[2:3], v[0:1]
	v_mul_f64_e32 v[0:1], v[130:131], v[8:9]
	v_fma_f64 v[212:213], v[128:129], v[6:7], -v[0:1]
	v_mul_f64_e32 v[0:1], v[128:129], v[8:9]
	s_delay_alu instid0(VALU_DEP_2) | instskip(NEXT) | instid1(VALU_DEP_2)
	v_add_f64_e64 v[58:59], v[200:201], -v[212:213]
	v_fma_f64 v[214:215], v[130:131], v[6:7], v[0:1]
	s_clause 0x1
	global_load_b128 v[4:7], v[17:18], off offset:15232
	global_load_b128 v[8:11], v[17:18], off offset:15248
	s_wait_loadcnt 0x1
	v_mul_f64_e32 v[0:1], v[142:143], v[6:7]
	v_mul_f64_e32 v[2:3], v[140:141], v[6:7]
	scratch_store_b128 off, v[4:7], off offset:276 ; 16-byte Folded Spill
	s_wait_loadcnt 0x0
	scratch_store_b128 off, v[8:11], off offset:292 ; 16-byte Folded Spill
	v_mul_f64_e32 v[6:7], v[136:137], v[10:11]
	v_fma_f64 v[0:1], v[140:141], v[4:5], -v[0:1]
	v_fma_f64 v[2:3], v[142:143], v[4:5], v[2:3]
	s_clause 0x1
	global_load_b128 v[140:143], v[17:18], off offset:15312
	global_load_b128 v[19:22], v[17:18], off offset:15296
	v_mul_f64_e32 v[4:5], v[138:139], v[10:11]
	v_fma_f64 v[6:7], v[138:139], v[8:9], v[6:7]
	s_delay_alu instid0(VALU_DEP_2)
	v_fma_f64 v[4:5], v[136:137], v[8:9], -v[4:5]
	s_wait_loadcnt_dscnt 0x100
	v_mul_f64_e32 v[8:9], v[150:151], v[142:143]
	v_mul_f64_e32 v[10:11], v[148:149], v[142:143]
	s_wait_loadcnt 0x0
	v_mul_f64_e32 v[12:13], v[146:147], v[21:22]
	v_mul_f64_e32 v[14:15], v[144:145], v[21:22]
	scratch_store_b128 off, v[19:22], off offset:308 ; 16-byte Folded Spill
	v_fma_f64 v[8:9], v[148:149], v[140:141], -v[8:9]
	v_fma_f64 v[10:11], v[150:151], v[140:141], v[10:11]
	v_fma_f64 v[12:13], v[144:145], v[19:20], -v[12:13]
	v_fma_f64 v[14:15], v[146:147], v[19:20], v[14:15]
	s_clause 0x1
	global_load_b128 v[144:147], v[17:18], off offset:3840
	global_load_b128 v[148:151], v[17:18], off offset:3856
	v_add_f64_e32 v[244:245], v[2:3], v[10:11]
	v_add_f64_e64 v[2:3], v[2:3], -v[10:11]
	v_add_f64_e32 v[236:237], v[6:7], v[14:15]
	v_add_f64_e64 v[6:7], v[6:7], -v[14:15]
	s_wait_loadcnt 0x1
	v_mul_f64_e32 v[19:20], v[158:159], v[146:147]
	s_delay_alu instid0(VALU_DEP_1) | instskip(SKIP_1) | instid1(VALU_DEP_1)
	v_fma_f64 v[216:217], v[156:157], v[144:145], -v[19:20]
	v_mul_f64_e32 v[19:20], v[156:157], v[146:147]
	v_fma_f64 v[218:219], v[158:159], v[144:145], v[19:20]
	s_wait_loadcnt 0x0
	v_mul_f64_e32 v[19:20], v[154:155], v[150:151]
	s_delay_alu instid0(VALU_DEP_1) | instskip(SKIP_1) | instid1(VALU_DEP_1)
	v_fma_f64 v[220:221], v[152:153], v[148:149], -v[19:20]
	v_mul_f64_e32 v[19:20], v[152:153], v[150:151]
	v_fma_f64 v[222:223], v[154:155], v[148:149], v[19:20]
	s_clause 0x1
	global_load_b128 v[152:155], v[17:18], off offset:15264
	global_load_b128 v[156:159], v[17:18], off offset:15280
	scratch_store_b32 off, v224, off offset:8 ; 4-byte Folded Spill
	s_wait_loadcnt 0x1
	v_mul_f64_e32 v[17:18], v[38:39], v[154:155]
	s_delay_alu instid0(VALU_DEP_1) | instskip(SKIP_1) | instid1(VALU_DEP_1)
	v_fma_f64 v[182:183], v[36:37], v[152:153], -v[17:18]
	v_mul_f64_e32 v[17:18], v[36:37], v[154:155]
	v_fma_f64 v[180:181], v[38:39], v[152:153], v[17:18]
	s_wait_loadcnt 0x0
	v_mul_f64_e32 v[17:18], v[34:35], v[158:159]
	s_delay_alu instid0(VALU_DEP_1) | instskip(SKIP_1) | instid1(VALU_DEP_2)
	v_fma_f64 v[194:195], v[32:33], v[156:157], -v[17:18]
	v_mul_f64_e32 v[17:18], v[32:33], v[158:159]
	v_add_f64_e32 v[232:233], v[182:183], v[194:195]
	s_delay_alu instid0(VALU_DEP_2) | instskip(SKIP_1) | instid1(VALU_DEP_1)
	v_fma_f64 v[192:193], v[34:35], v[156:157], v[17:18]
	v_subrev_nc_u32_e32 v17, 17, v224
	v_cndmask_b32_e64 v16, v17, v16, s0
	s_delay_alu instid0(VALU_DEP_1) | instskip(SKIP_1) | instid1(VALU_DEP_2)
	v_mul_i32_i24_e32 v17, 0x60, v16
	v_mul_hi_i32_i24_e32 v16, 0x60, v16
	v_add_co_u32 v184, s1, s2, v17
	s_wait_alu 0xf1ff
	s_delay_alu instid0(VALU_DEP_2)
	v_add_co_ci_u32_e64 v185, s1, s3, v16, s1
	s_clause 0x1
	global_load_b128 v[20:23], v[184:185], off offset:3808
	global_load_b128 v[120:123], v[184:185], off offset:3824
	s_mov_b32 s2, 0x36b3c0b5
	s_mov_b32 s3, 0x3fac98ee
	v_add_f64_e32 v[246:247], v[180:181], v[192:193]
	s_wait_loadcnt 0x1
	scratch_store_b128 off, v[20:23], off offset:404 ; 16-byte Folded Spill
	s_clause 0x3
	global_load_b128 v[124:127], v[184:185], off offset:3888
	global_load_b128 v[128:131], v[184:185], off offset:3872
	;; [unrolled: 1-line block ×4, first 2 shown]
	v_mul_f64_e32 v[16:17], v[42:43], v[22:23]
	s_delay_alu instid0(VALU_DEP_1) | instskip(SKIP_1) | instid1(VALU_DEP_1)
	v_fma_f64 v[18:19], v[40:41], v[20:21], -v[16:17]
	v_mul_f64_e32 v[16:17], v[40:41], v[22:23]
	v_fma_f64 v[16:17], v[42:43], v[20:21], v[16:17]
	s_wait_loadcnt 0x4
	v_mul_f64_e32 v[20:21], v[46:47], v[122:123]
	s_delay_alu instid0(VALU_DEP_1) | instskip(SKIP_1) | instid1(VALU_DEP_1)
	v_fma_f64 v[22:23], v[44:45], v[120:121], -v[20:21]
	v_mul_f64_e32 v[20:21], v[44:45], v[122:123]
	v_fma_f64 v[20:21], v[46:47], v[120:121], v[20:21]
	s_wait_loadcnt 0x3
	v_mul_f64_e32 v[32:33], v[54:55], v[126:127]
	s_wait_loadcnt 0x2
	v_mul_f64_e32 v[36:37], v[50:51], v[130:131]
	;; [unrolled: 2-line block ×4, first 2 shown]
	s_delay_alu instid0(VALU_DEP_4) | instskip(NEXT) | instid1(VALU_DEP_4)
	v_fma_f64 v[34:35], v[52:53], v[124:125], -v[32:33]
	v_fma_f64 v[38:39], v[48:49], v[128:129], -v[36:37]
	v_mul_f64_e32 v[36:37], v[48:49], v[130:131]
	v_fma_f64 v[42:43], v[172:173], v[132:133], -v[40:41]
	v_mul_f64_e32 v[40:41], v[172:173], v[134:135]
	v_mul_f64_e32 v[32:33], v[52:53], v[126:127]
	v_fma_f64 v[46:47], v[176:177], v[136:137], -v[44:45]
	v_mul_f64_e32 v[44:45], v[176:177], v[138:139]
	v_add_f64_e32 v[48:49], v[196:197], v[208:209]
	v_add_f64_e32 v[172:173], v[198:199], v[210:211]
	v_add_f64_e32 v[52:53], v[216:217], v[220:221]
	v_add_f64_e32 v[176:177], v[218:219], v[222:223]
	v_add_f64_e64 v[196:197], v[196:197], -v[208:209]
	v_add_f64_e64 v[198:199], v[198:199], -v[210:211]
	v_fma_f64 v[36:37], v[50:51], v[128:129], v[36:37]
	v_add_f64_e32 v[50:51], v[200:201], v[212:213]
	v_fma_f64 v[40:41], v[174:175], v[132:133], v[40:41]
	v_add_f64_e32 v[174:175], v[202:203], v[214:215]
	v_fma_f64 v[32:33], v[54:55], v[124:125], v[32:33]
	v_fma_f64 v[44:45], v[178:179], v[136:137], v[44:45]
	v_add_f64_e32 v[253:254], v[42:43], v[46:47]
	v_add_f64_e64 v[200:201], v[222:223], -v[218:219]
	v_add_f64_e32 v[28:29], v[20:21], v[36:37]
	v_add_f64_e32 v[54:55], v[50:51], v[48:49]
	;; [unrolled: 1-line block ×5, first 2 shown]
	s_delay_alu instid0(VALU_DEP_4) | instskip(NEXT) | instid1(VALU_DEP_4)
	v_add_f64_e32 v[54:55], v[52:53], v[54:55]
	v_add_f64_e32 v[178:179], v[176:177], v[178:179]
	s_delay_alu instid0(VALU_DEP_2) | instskip(SKIP_1) | instid1(VALU_DEP_3)
	v_add_f64_e32 v[184:185], v[168:169], v[54:55]
	v_add_f64_e32 v[168:169], v[0:1], v[8:9]
	;; [unrolled: 1-line block ×4, first 2 shown]
	v_add_f64_e64 v[0:1], v[0:1], -v[8:9]
	v_add_f64_e64 v[8:9], v[192:193], -v[180:181]
	;; [unrolled: 1-line block ×4, first 2 shown]
	v_fma_f64 v[54:55], v[54:55], s[14:15], v[184:185]
	v_fma_f64 v[178:179], v[178:179], s[14:15], v[186:187]
	v_add_f64_e32 v[188:189], v[170:171], v[168:169]
	v_add_f64_e64 v[14:15], v[232:233], -v[170:171]
	v_add_f64_e64 v[10:11], v[170:171], -v[168:169]
	s_delay_alu instid0(VALU_DEP_3) | instskip(SKIP_1) | instid1(VALU_DEP_2)
	v_add_f64_e32 v[234:235], v[232:233], v[188:189]
	v_add_f64_e32 v[188:189], v[236:237], v[244:245]
	v_add_f64_e32 v[204:205], v[164:165], v[234:235]
	s_delay_alu instid0(VALU_DEP_2) | instskip(SKIP_1) | instid1(VALU_DEP_2)
	v_add_f64_e32 v[238:239], v[246:247], v[188:189]
	v_add_f64_e32 v[164:165], v[18:19], v[34:35]
	;; [unrolled: 1-line block ×4, first 2 shown]
	s_delay_alu instid0(VALU_DEP_1) | instskip(NEXT) | instid1(VALU_DEP_1)
	v_add_f64_e32 v[188:189], v[166:167], v[164:165]
	v_add_f64_e32 v[24:25], v[253:254], v[188:189]
	;; [unrolled: 1-line block ×3, first 2 shown]
	s_delay_alu instid0(VALU_DEP_1) | instskip(NEXT) | instid1(VALU_DEP_3)
	v_add_f64_e32 v[56:57], v[30:31], v[188:189]
	v_add_f64_e32 v[188:189], v[160:161], v[24:25]
	v_add_f64_e64 v[160:161], v[220:221], -v[216:217]
	v_add_f64_e64 v[216:217], v[174:175], -v[172:173]
	;; [unrolled: 1-line block ×3, first 2 shown]
	v_add_f64_e32 v[190:191], v[162:163], v[56:57]
	v_add_f64_e64 v[162:163], v[202:203], -v[214:215]
	v_add_f64_e64 v[210:211], v[160:161], -v[58:59]
	;; [unrolled: 1-line block ×4, first 2 shown]
	v_add_f64_e32 v[208:209], v[160:161], v[58:59]
	v_add_f64_e64 v[58:59], v[58:59], -v[196:197]
	v_add_f64_e64 v[48:49], v[48:49], -v[52:53]
	;; [unrolled: 1-line block ×5, first 2 shown]
	v_fma_f64 v[24:25], v[24:25], s[14:15], v[188:189]
	v_add_f64_e64 v[212:213], v[200:201], -v[162:163]
	v_mul_f64_e32 v[220:221], s[18:19], v[210:211]
	v_add_f64_e32 v[214:215], v[200:201], v[162:163]
	v_add_f64_e64 v[162:163], v[162:163], -v[198:199]
	v_add_f64_e32 v[228:229], v[208:209], v[196:197]
	s_wait_alu 0xfffe
	v_mul_f64_e32 v[208:209], s[2:3], v[50:51]
	v_mul_f64_e32 v[48:49], s[24:25], v[48:49]
	v_mul_f64_e32 v[52:53], s[24:25], v[52:53]
	v_mul_f64_e32 v[210:211], s[2:3], v[174:175]
	v_mul_f64_e32 v[222:223], s[18:19], v[212:213]
	v_fma_f64 v[212:213], v[58:59], s[10:11], -v[220:221]
	v_mul_f64_e32 v[58:59], s[10:11], v[58:59]
	v_add_f64_e32 v[230:231], v[214:215], v[198:199]
	v_fma_f64 v[208:209], v[202:203], s[16:17], -v[208:209]
	v_fma_f64 v[176:177], v[202:203], s[26:27], -v[48:49]
	;; [unrolled: 1-line block ×3, first 2 shown]
	v_fma_f64 v[48:49], v[50:51], s[2:3], v[48:49]
	v_fma_f64 v[210:211], v[216:217], s[16:17], -v[210:211]
	v_fma_f64 v[50:51], v[174:175], s[2:3], v[52:53]
	v_fma_f64 v[174:175], v[238:239], s[14:15], v[206:207]
	;; [unrolled: 1-line block ×3, first 2 shown]
	v_fma_f64 v[212:213], v[162:163], s[10:11], -v[222:223]
	v_fma_f64 v[58:59], v[160:161], s[28:29], -v[58:59]
	v_mul_f64_e32 v[162:163], s[10:11], v[162:163]
	v_add_f64_e32 v[218:219], v[208:209], v[54:55]
	v_add_f64_e32 v[176:177], v[176:177], v[54:55]
	;; [unrolled: 1-line block ×6, first 2 shown]
	v_add_f64_e64 v[54:55], v[12:13], -v[4:5]
	v_fma_f64 v[212:213], v[230:231], s[20:21], v[212:213]
	v_fma_f64 v[58:59], v[228:229], s[20:21], v[58:59]
	v_fma_f64 v[162:163], v[172:173], s[28:29], -v[162:163]
	v_add_f64_e32 v[210:211], v[214:215], v[224:225]
	v_add_f64_e64 v[214:215], v[224:225], -v[214:215]
	v_mul_f64_e32 v[54:55], s[18:19], v[54:55]
	v_add_f64_e64 v[208:209], v[218:219], -v[212:213]
	v_add_f64_e32 v[212:213], v[212:213], v[218:219]
	v_add_f64_e64 v[218:219], v[196:197], -v[58:59]
	v_add_f64_e32 v[226:227], v[58:59], v[196:197]
	v_fma_f64 v[58:59], v[160:161], s[22:23], v[220:221]
	v_fma_f64 v[160:161], v[172:173], s[22:23], v[222:223]
	v_fma_f64 v[162:163], v[230:231], s[20:21], v[162:163]
	v_fma_f64 v[172:173], v[234:235], s[14:15], v[204:205]
	s_delay_alu instid0(VALU_DEP_4) | instskip(NEXT) | instid1(VALU_DEP_4)
	v_fma_f64 v[52:53], v[228:229], s[20:21], v[58:59]
	v_fma_f64 v[58:59], v[230:231], s[20:21], v[160:161]
	s_delay_alu instid0(VALU_DEP_4)
	v_add_f64_e32 v[216:217], v[162:163], v[176:177]
	v_add_f64_e64 v[224:225], v[176:177], -v[162:163]
	v_add_f64_e32 v[160:161], v[8:9], v[6:7]
	v_mul_f64_e32 v[162:163], s[2:3], v[14:15]
	v_add_f64_e64 v[222:223], v[50:51], -v[52:53]
	v_add_f64_e32 v[220:221], v[58:59], v[48:49]
	v_add_f64_e64 v[228:229], v[48:49], -v[58:59]
	v_add_f64_e64 v[58:59], v[8:9], -v[6:7]
	;; [unrolled: 1-line block ×3, first 2 shown]
	v_add_f64_e32 v[160:161], v[160:161], v[2:3]
	v_fma_f64 v[162:163], v[10:11], s[16:17], -v[162:163]
	v_add_f64_e32 v[230:231], v[52:53], v[50:51]
	v_add_f64_e64 v[48:49], v[236:237], -v[244:245]
	v_add_f64_e64 v[50:51], v[246:247], -v[236:237]
	;; [unrolled: 1-line block ×3, first 2 shown]
	v_add_f64_e32 v[52:53], v[12:13], v[4:5]
	v_add_f64_e64 v[4:5], v[4:5], -v[0:1]
	v_mul_f64_e32 v[58:59], s[18:19], v[58:59]
	v_add_f64_e32 v[162:163], v[162:163], v[172:173]
	v_mul_f64_e32 v[170:171], s[2:3], v[50:51]
	v_add_f64_e32 v[52:53], v[52:53], v[0:1]
	v_fma_f64 v[176:177], v[4:5], s[10:11], -v[54:55]
	v_add_f64_e64 v[0:1], v[0:1], -v[12:13]
	v_mul_f64_e32 v[4:5], s[10:11], v[4:5]
	v_fma_f64 v[178:179], v[6:7], s[10:11], -v[58:59]
	v_mul_f64_e32 v[6:7], s[10:11], v[6:7]
	v_fma_f64 v[170:171], v[48:49], s[16:17], -v[170:171]
	v_fma_f64 v[176:177], v[52:53], s[20:21], v[176:177]
	v_fma_f64 v[4:5], v[0:1], s[28:29], -v[4:5]
	v_fma_f64 v[0:1], v[0:1], s[22:23], v[54:55]
	v_fma_f64 v[178:179], v[160:161], s[20:21], v[178:179]
	v_fma_f64 v[6:7], v[2:3], s[28:29], -v[6:7]
	v_fma_f64 v[2:3], v[2:3], s[22:23], v[58:59]
	v_add_f64_e32 v[170:171], v[170:171], v[174:175]
	v_fma_f64 v[4:5], v[52:53], s[20:21], v[4:5]
	v_fma_f64 v[0:1], v[52:53], s[20:21], v[0:1]
	v_add_f64_e64 v[240:241], v[162:163], -v[178:179]
	v_add_f64_e32 v[236:237], v[178:179], v[162:163]
	v_add_f64_e64 v[162:163], v[168:169], -v[232:233]
	v_add_f64_e64 v[168:169], v[244:245], -v[246:247]
	v_fma_f64 v[6:7], v[160:161], s[20:21], v[6:7]
	v_fma_f64 v[2:3], v[160:161], s[20:21], v[2:3]
	v_add_f64_e32 v[242:243], v[176:177], v[170:171]
	v_add_f64_e64 v[238:239], v[170:171], -v[176:177]
	v_mul_f64_e32 v[8:9], s[24:25], v[162:163]
	v_mul_f64_e32 v[12:13], s[24:25], v[168:169]
	s_delay_alu instid0(VALU_DEP_2) | instskip(NEXT) | instid1(VALU_DEP_2)
	v_fma_f64 v[10:11], v[10:11], s[26:27], -v[8:9]
	v_fma_f64 v[48:49], v[48:49], s[26:27], -v[12:13]
	s_delay_alu instid0(VALU_DEP_2) | instskip(NEXT) | instid1(VALU_DEP_2)
	v_add_f64_e32 v[10:11], v[10:11], v[172:173]
	v_add_f64_e32 v[48:49], v[48:49], v[174:175]
	s_delay_alu instid0(VALU_DEP_2) | instskip(SKIP_2) | instid1(VALU_DEP_4)
	v_add_f64_e32 v[244:245], v[6:7], v[10:11]
	v_add_f64_e64 v[232:233], v[10:11], -v[6:7]
	v_fma_f64 v[6:7], v[50:51], s[2:3], v[12:13]
	v_add_f64_e64 v[246:247], v[48:49], -v[4:5]
	v_add_f64_e32 v[234:235], v[4:5], v[48:49]
	v_fma_f64 v[4:5], v[14:15], s[2:3], v[8:9]
	v_add_f64_e64 v[8:9], v[44:45], -v[40:41]
	v_add_f64_e64 v[10:11], v[16:17], -v[32:33]
	;; [unrolled: 1-line block ×6, first 2 shown]
	v_add_f64_e32 v[6:7], v[6:7], v[174:175]
	v_add_f64_e32 v[4:5], v[4:5], v[172:173]
	s_delay_alu instid0(VALU_DEP_2) | instskip(SKIP_2) | instid1(VALU_DEP_4)
	v_add_f64_e64 v[250:251], v[6:7], -v[0:1]
	v_add_f64_e32 v[198:199], v[0:1], v[6:7]
	v_add_f64_e64 v[6:7], v[20:21], -v[36:37]
	v_add_f64_e32 v[248:249], v[2:3], v[4:5]
	v_add_f64_e64 v[196:197], v[4:5], -v[2:3]
	v_add_f64_e64 v[4:5], v[18:19], -v[34:35]
	;; [unrolled: 1-line block ×3, first 2 shown]
	v_mul_f64_e32 v[34:35], s[2:3], v[14:15]
	v_add_f64_e64 v[0:1], v[22:23], -v[38:39]
	v_add_f64_e64 v[2:3], v[46:47], -v[42:43]
	v_fma_f64 v[38:39], v[56:57], s[14:15], v[190:191]
	ds_store_b128 v252, v[184:187]
	ds_store_b128 v252, v[204:207] offset:1904
	ds_store_b128 v252, v[220:223] offset:4080
	;; [unrolled: 1-line block ×13, first 2 shown]
	v_add_f64_e64 v[32:33], v[8:9], -v[6:7]
	v_add_f64_e32 v[28:29], v[8:9], v[6:7]
	v_add_f64_e64 v[6:7], v[6:7], -v[10:11]
	v_mul_f64_e32 v[36:37], s[2:3], v[18:19]
	v_fma_f64 v[34:35], v[12:13], s[16:17], -v[34:35]
	v_add_f64_e64 v[22:23], v[2:3], -v[0:1]
	v_add_f64_e32 v[20:21], v[2:3], v[0:1]
	v_add_f64_e64 v[0:1], v[0:1], -v[4:5]
	v_add_f64_e64 v[2:3], v[4:5], -v[2:3]
	v_mul_f64_e32 v[32:33], s[18:19], v[32:33]
	v_add_f64_e32 v[28:29], v[28:29], v[10:11]
	v_fma_f64 v[36:37], v[16:17], s[16:17], -v[36:37]
	v_add_f64_e32 v[34:35], v[34:35], v[24:25]
	v_mul_f64_e32 v[22:23], s[18:19], v[22:23]
	v_add_f64_e32 v[20:21], v[20:21], v[4:5]
	v_add_f64_e64 v[4:5], v[10:11], -v[8:9]
	v_mul_f64_e32 v[10:11], s[24:25], v[26:27]
	v_fma_f64 v[42:43], v[6:7], s[10:11], -v[32:33]
	v_mul_f64_e32 v[6:7], s[10:11], v[6:7]
	v_add_f64_e32 v[36:37], v[36:37], v[38:39]
	v_fma_f64 v[40:41], v[0:1], s[10:11], -v[22:23]
	v_mul_f64_e32 v[0:1], s[10:11], v[0:1]
	v_fma_f64 v[16:17], v[16:17], s[26:27], -v[10:11]
	v_fma_f64 v[42:43], v[28:29], s[20:21], v[42:43]
	v_fma_f64 v[6:7], v[4:5], s[28:29], -v[6:7]
	v_fma_f64 v[40:41], v[20:21], s[20:21], v[40:41]
	v_fma_f64 v[0:1], v[2:3], s[28:29], -v[0:1]
	v_add_f64_e32 v[16:17], v[16:17], v[38:39]
	v_add_f64_e64 v[180:181], v[34:35], -v[42:43]
	v_add_f64_e32 v[160:161], v[42:43], v[34:35]
	v_add_f64_e64 v[34:35], v[164:165], -v[253:254]
	v_fma_f64 v[6:7], v[28:29], s[20:21], v[6:7]
	v_add_f64_e32 v[182:183], v[40:41], v[36:37]
	v_fma_f64 v[0:1], v[20:21], s[20:21], v[0:1]
	v_add_f64_e64 v[162:163], v[36:37], -v[40:41]
	v_mul_f64_e32 v[8:9], s[24:25], v[34:35]
	s_delay_alu instid0(VALU_DEP_3)
	v_add_f64_e64 v[194:195], v[16:17], -v[0:1]
	v_add_f64_e32 v[166:167], v[0:1], v[16:17]
	v_fma_f64 v[0:1], v[2:3], s[22:23], v[22:23]
	v_fma_f64 v[2:3], v[4:5], s[22:23], v[32:33]
	v_fma_f64 v[12:13], v[12:13], s[26:27], -v[8:9]
	v_fma_f64 v[4:5], v[14:15], s[2:3], v[8:9]
	s_delay_alu instid0(VALU_DEP_4) | instskip(NEXT) | instid1(VALU_DEP_4)
	v_fma_f64 v[0:1], v[20:21], s[20:21], v[0:1]
	v_fma_f64 v[2:3], v[28:29], s[20:21], v[2:3]
	s_delay_alu instid0(VALU_DEP_4) | instskip(NEXT) | instid1(VALU_DEP_4)
	v_add_f64_e32 v[12:13], v[12:13], v[24:25]
	v_add_f64_e32 v[4:5], v[4:5], v[24:25]
	s_delay_alu instid0(VALU_DEP_2) | instskip(SKIP_2) | instid1(VALU_DEP_4)
	v_add_f64_e32 v[192:193], v[6:7], v[12:13]
	v_add_f64_e64 v[164:165], v[12:13], -v[6:7]
	v_fma_f64 v[6:7], v[18:19], s[2:3], v[10:11]
	v_add_f64_e32 v[200:201], v[2:3], v[4:5]
	v_add_f64_e64 v[170:171], v[4:5], -v[2:3]
	s_delay_alu instid0(VALU_DEP_3) | instskip(NEXT) | instid1(VALU_DEP_1)
	v_add_f64_e32 v[6:7], v[6:7], v[38:39]
	v_add_f64_e64 v[202:203], v[6:7], -v[0:1]
	v_add_f64_e32 v[172:173], v[0:1], v[6:7]
	s_and_saveexec_b32 s1, s0
	s_cbranch_execz .LBB0_11
; %bb.10:
	ds_store_b128 v252, v[188:191] offset:3808
	ds_store_b128 v252, v[200:203] offset:7888
	;; [unrolled: 1-line block ×7, first 2 shown]
.LBB0_11:
	s_wait_alu 0xfffe
	s_or_b32 exec_lo, exec_lo, s1
	global_wb scope:SCOPE_SE
	s_wait_storecnt_dscnt 0x0
	s_barrier_signal -1
	s_barrier_wait -1
	global_inv scope:SCOPE_SE
	s_and_saveexec_b32 s1, vcc_lo
	s_cbranch_execz .LBB0_13
; %bb.12:
	global_load_b128 v[0:3], v255, s[8:9] offset:28560
	s_add_nc_u64 s[2:3], s[8:9], 0x6f90
	s_clause 0x6
	global_load_b128 v[4:7], v255, s[2:3] offset:1680
	global_load_b128 v[8:11], v255, s[2:3] offset:3360
	;; [unrolled: 1-line block ×7, first 2 shown]
	ds_load_b128 v[40:43], v252
	s_clause 0x1
	global_load_b128 v[44:47], v255, s[2:3] offset:13440
	global_load_b128 v[48:51], v255, s[2:3] offset:16800
	v_dual_mov_b32 v56, v164 :: v_dual_mov_b32 v57, v165
	v_dual_mov_b32 v58, v166 :: v_dual_mov_b32 v59, v167
	global_load_b128 v[164:167], v255, s[2:3] offset:18480
	v_dual_mov_b32 v28, v160 :: v_dual_mov_b32 v29, v161
	v_dual_mov_b32 v30, v162 :: v_dual_mov_b32 v31, v163
	v_dual_mov_b32 v96, v170 :: v_dual_mov_b32 v97, v171
	v_dual_mov_b32 v98, v172 :: v_dual_mov_b32 v99, v173
	s_wait_loadcnt_dscnt 0xa00
	v_mul_f64_e32 v[24:25], v[42:43], v[2:3]
	v_mul_f64_e32 v[2:3], v[40:41], v[2:3]
	s_delay_alu instid0(VALU_DEP_2) | instskip(NEXT) | instid1(VALU_DEP_2)
	v_fma_f64 v[40:41], v[40:41], v[0:1], -v[24:25]
	v_fma_f64 v[42:43], v[42:43], v[0:1], v[2:3]
	global_load_b128 v[0:3], v255, s[2:3] offset:15120
	ds_store_b128 v252, v[40:43]
	ds_load_b128 v[40:43], v255 offset:1680
	ds_load_b128 v[52:55], v255 offset:3360
	;; [unrolled: 1-line block ×4, first 2 shown]
	s_wait_loadcnt_dscnt 0xa03
	v_mul_f64_e32 v[24:25], v[42:43], v[6:7]
	v_mul_f64_e32 v[6:7], v[40:41], v[6:7]
	s_wait_loadcnt_dscnt 0x902
	v_mul_f64_e32 v[26:27], v[54:55], v[10:11]
	v_mul_f64_e32 v[10:11], v[52:53], v[10:11]
	s_delay_alu instid0(VALU_DEP_4) | instskip(NEXT) | instid1(VALU_DEP_4)
	v_fma_f64 v[40:41], v[40:41], v[4:5], -v[24:25]
	v_fma_f64 v[42:43], v[42:43], v[4:5], v[6:7]
	ds_load_b128 v[4:7], v255 offset:6720
	s_wait_loadcnt_dscnt 0x802
	v_mul_f64_e32 v[24:25], v[162:163], v[14:15]
	v_mul_f64_e32 v[14:15], v[160:161], v[14:15]
	v_fma_f64 v[52:53], v[52:53], v[8:9], -v[26:27]
	v_fma_f64 v[54:55], v[54:55], v[8:9], v[10:11]
	global_load_b128 v[8:11], v255, s[2:3] offset:20160
	s_wait_loadcnt_dscnt 0x800
	v_mul_f64_e32 v[26:27], v[6:7], v[18:19]
	v_mul_f64_e32 v[18:19], v[4:5], v[18:19]
	v_fma_f64 v[160:161], v[160:161], v[12:13], -v[24:25]
	v_fma_f64 v[162:163], v[162:163], v[12:13], v[14:15]
	ds_load_b128 v[12:15], v255 offset:8400
	v_fma_f64 v[4:5], v[4:5], v[16:17], -v[26:27]
	v_fma_f64 v[6:7], v[6:7], v[16:17], v[18:19]
	global_load_b128 v[16:19], v255, s[2:3] offset:21840
	s_wait_loadcnt_dscnt 0x800
	v_mul_f64_e32 v[24:25], v[14:15], v[22:23]
	v_mul_f64_e32 v[22:23], v[12:13], v[22:23]
	s_wait_loadcnt 0x7
	v_mul_f64_e32 v[26:27], v[168:169], v[34:35]
	s_delay_alu instid0(VALU_DEP_3) | instskip(SKIP_1) | instid1(VALU_DEP_4)
	v_fma_f64 v[12:13], v[12:13], v[20:21], -v[24:25]
	v_mul_f64_e32 v[24:25], v[170:171], v[34:35]
	v_fma_f64 v[14:15], v[14:15], v[20:21], v[22:23]
	ds_load_b128 v[20:23], v255 offset:11760
	v_fma_f64 v[170:171], v[170:171], v[32:33], v[26:27]
	v_fma_f64 v[168:169], v[168:169], v[32:33], -v[24:25]
	ds_load_b128 v[32:35], v255 offset:13440
	s_wait_loadcnt_dscnt 0x601
	v_mul_f64_e32 v[24:25], v[22:23], v[38:39]
	v_mul_f64_e32 v[26:27], v[20:21], v[38:39]
	s_delay_alu instid0(VALU_DEP_2) | instskip(NEXT) | instid1(VALU_DEP_2)
	v_fma_f64 v[20:21], v[20:21], v[36:37], -v[24:25]
	v_fma_f64 v[22:23], v[22:23], v[36:37], v[26:27]
	s_wait_loadcnt_dscnt 0x500
	v_mul_f64_e32 v[24:25], v[34:35], v[46:47]
	v_mul_f64_e32 v[26:27], v[32:33], v[46:47]
	ds_load_b128 v[36:39], v255 offset:15120
	v_fma_f64 v[32:33], v[32:33], v[44:45], -v[24:25]
	v_fma_f64 v[34:35], v[34:35], v[44:45], v[26:27]
	ds_load_b128 v[44:47], v255 offset:16800
	s_wait_loadcnt_dscnt 0x201
	v_mul_f64_e32 v[24:25], v[38:39], v[2:3]
	v_mul_f64_e32 v[2:3], v[36:37], v[2:3]
	s_wait_dscnt 0x0
	v_mul_f64_e32 v[26:27], v[44:45], v[50:51]
	s_delay_alu instid0(VALU_DEP_3) | instskip(SKIP_1) | instid1(VALU_DEP_4)
	v_fma_f64 v[36:37], v[36:37], v[0:1], -v[24:25]
	v_mul_f64_e32 v[24:25], v[46:47], v[50:51]
	v_fma_f64 v[38:39], v[38:39], v[0:1], v[2:3]
	ds_load_b128 v[0:3], v255 offset:18480
	v_fma_f64 v[46:47], v[46:47], v[48:49], v[26:27]
	v_fma_f64 v[44:45], v[44:45], v[48:49], -v[24:25]
	ds_load_b128 v[48:51], v255 offset:20160
	s_wait_dscnt 0x1
	v_mul_f64_e32 v[24:25], v[2:3], v[166:167]
	v_mul_f64_e32 v[26:27], v[0:1], v[166:167]
	s_delay_alu instid0(VALU_DEP_2) | instskip(SKIP_3) | instid1(VALU_DEP_4)
	v_fma_f64 v[0:1], v[0:1], v[164:165], -v[24:25]
	s_wait_loadcnt_dscnt 0x100
	v_mul_f64_e32 v[24:25], v[50:51], v[10:11]
	v_mul_f64_e32 v[10:11], v[48:49], v[10:11]
	v_fma_f64 v[2:3], v[2:3], v[164:165], v[26:27]
	ds_load_b128 v[164:167], v255 offset:21840
	v_fma_f64 v[48:49], v[48:49], v[8:9], -v[24:25]
	v_fma_f64 v[50:51], v[50:51], v[8:9], v[10:11]
	ds_load_b128 v[8:11], v255 offset:23520
	s_wait_loadcnt_dscnt 0x1
	v_mul_f64_e32 v[24:25], v[166:167], v[18:19]
	v_mul_f64_e32 v[18:19], v[164:165], v[18:19]
	s_delay_alu instid0(VALU_DEP_2) | instskip(NEXT) | instid1(VALU_DEP_2)
	v_fma_f64 v[164:165], v[164:165], v[16:17], -v[24:25]
	v_fma_f64 v[166:167], v[166:167], v[16:17], v[18:19]
	s_clause 0x1
	global_load_b128 v[16:19], v255, s[2:3] offset:23520
	global_load_b128 v[172:175], v255, s[2:3] offset:25200
	s_wait_loadcnt_dscnt 0x100
	v_mul_f64_e32 v[24:25], v[10:11], v[18:19]
	v_mul_f64_e32 v[18:19], v[8:9], v[18:19]
	s_delay_alu instid0(VALU_DEP_2) | instskip(NEXT) | instid1(VALU_DEP_2)
	v_fma_f64 v[8:9], v[8:9], v[16:17], -v[24:25]
	v_fma_f64 v[10:11], v[10:11], v[16:17], v[18:19]
	ds_load_b128 v[16:19], v255 offset:25200
	ds_load_b128 v[176:179], v255 offset:26880
	s_wait_loadcnt_dscnt 0x1
	v_mul_f64_e32 v[24:25], v[18:19], v[174:175]
	v_mul_f64_e32 v[26:27], v[16:17], v[174:175]
	s_delay_alu instid0(VALU_DEP_2) | instskip(NEXT) | instid1(VALU_DEP_2)
	v_fma_f64 v[16:17], v[16:17], v[172:173], -v[24:25]
	v_fma_f64 v[18:19], v[18:19], v[172:173], v[26:27]
	global_load_b128 v[172:175], v255, s[2:3] offset:26880
	ds_store_b128 v255, v[40:43] offset:1680
	ds_store_b128 v255, v[52:55] offset:3360
	;; [unrolled: 1-line block ×3, first 2 shown]
	v_dual_mov_b32 v163, v31 :: v_dual_mov_b32 v162, v30
	ds_store_b128 v255, v[4:7] offset:6720
	ds_store_b128 v255, v[12:15] offset:8400
	;; [unrolled: 1-line block ×10, first 2 shown]
	v_dual_mov_b32 v167, v59 :: v_dual_mov_b32 v166, v58
	v_dual_mov_b32 v161, v29 :: v_dual_mov_b32 v160, v28
	;; [unrolled: 1-line block ×3, first 2 shown]
	s_wait_loadcnt_dscnt 0xd
	v_mul_f64_e32 v[24:25], v[178:179], v[174:175]
	v_mul_f64_e32 v[26:27], v[176:177], v[174:175]
	s_delay_alu instid0(VALU_DEP_2) | instskip(NEXT) | instid1(VALU_DEP_2)
	v_fma_f64 v[174:175], v[176:177], v[172:173], -v[24:25]
	v_fma_f64 v[176:177], v[178:179], v[172:173], v[26:27]
	v_dual_mov_b32 v173, v99 :: v_dual_mov_b32 v172, v98
	v_dual_mov_b32 v171, v97 :: v_dual_mov_b32 v170, v96
	ds_store_b128 v255, v[8:11] offset:23520
	ds_store_b128 v255, v[16:19] offset:25200
	;; [unrolled: 1-line block ×3, first 2 shown]
.LBB0_13:
	s_wait_alu 0xfffe
	s_or_b32 exec_lo, exec_lo, s1
	global_wb scope:SCOPE_SE
	s_wait_dscnt 0x0
	s_barrier_signal -1
	s_barrier_wait -1
	global_inv scope:SCOPE_SE
	s_and_saveexec_b32 s1, vcc_lo
	s_cbranch_execz .LBB0_15
; %bb.14:
	ds_load_b128 v[184:187], v252
	ds_load_b128 v[220:223], v252 offset:1680
	ds_load_b128 v[216:219], v252 offset:3360
	ds_load_b128 v[208:211], v252 offset:5040
	ds_load_b128 v[212:215], v252 offset:6720
	ds_load_b128 v[224:227], v252 offset:8400
	ds_load_b128 v[228:231], v252 offset:10080
	ds_load_b128 v[204:207], v252 offset:11760
	ds_load_b128 v[248:251], v252 offset:13440
	ds_load_b128 v[244:247], v252 offset:15120
	ds_load_b128 v[240:243], v252 offset:16800
	ds_load_b128 v[236:239], v252 offset:18480
	ds_load_b128 v[232:235], v252 offset:20160
	ds_load_b128 v[196:199], v252 offset:21840
	ds_load_b128 v[188:191], v252 offset:23520
	ds_load_b128 v[200:203], v252 offset:25200
	ds_load_b128 v[192:195], v252 offset:26880
.LBB0_15:
	s_wait_alu 0xfffe
	s_or_b32 exec_lo, exec_lo, s1
	s_wait_dscnt 0x0
	v_add_f64_e64 v[16:17], v[222:223], -v[194:195]
	s_mov_b32 s14, 0x5d8e7cdc
	s_mov_b32 s15, 0xbfd71e95
	v_add_f64_e32 v[14:15], v[220:221], v[192:193]
	v_add_f64_e64 v[168:169], v[218:219], -v[202:203]
	s_mov_b32 s2, 0x370991
	s_mov_b32 s16, 0x2a9d6da3
	s_mov_b32 s3, 0x3fedd6d0
	s_mov_b32 s17, 0xbfe58eea
	v_add_f64_e32 v[34:35], v[216:217], v[200:201]
	s_mov_b32 s10, 0x75d4884
	s_mov_b32 s11, 0x3fe7a5f6
	v_add_f64_e32 v[20:21], v[222:223], v[194:195]
	v_add_f64_e64 v[18:19], v[220:221], -v[192:193]
	v_add_f64_e32 v[38:39], v[218:219], v[202:203]
	v_add_f64_e64 v[32:33], v[216:217], -v[200:201]
	v_add_f64_e64 v[174:175], v[210:211], -v[190:191]
	s_mov_b32 s24, 0x7c9e640b
	s_mov_b32 s25, 0xbfeca52d
	v_add_f64_e32 v[36:37], v[208:209], v[188:189]
	v_add_f64_e32 v[96:97], v[210:211], v[190:191]
	s_mov_b32 s18, 0x2b2883cd
	s_mov_b32 s19, 0x3fdc86fa
	v_add_f64_e64 v[44:45], v[208:209], -v[188:189]
	v_add_f64_e64 v[42:43], v[214:215], -v[198:199]
	s_mov_b32 s34, 0xeb564b22
	s_mov_b32 s35, 0xbfefdd0d
	v_add_f64_e32 v[48:49], v[212:213], v[196:197]
	v_add_f64_e32 v[40:41], v[214:215], v[198:199]
	s_mov_b32 s20, 0x3259b75e
	s_mov_b32 s21, 0x3fb79ee6
	v_add_f64_e64 v[54:55], v[212:213], -v[196:197]
	v_add_f64_e64 v[52:53], v[226:227], -v[234:235]
	s_mov_b32 s46, 0x923c349f
	s_mov_b32 s47, 0xbfeec746
	v_add_f64_e32 v[46:47], v[224:225], v[232:233]
	s_mov_b32 s22, 0xc61f0d01
	s_mov_b32 s23, 0xbfd183b1
	s_wait_alu 0xfffe
	v_mul_f64_e32 v[106:107], s[14:15], v[16:17]
	v_add_f64_e32 v[50:51], v[226:227], v[234:235]
	s_mov_b32 s36, 0x6c9a05f6
	s_mov_b32 s37, 0xbfe9895b
	v_mul_f64_e32 v[100:101], s[16:17], v[168:169]
	v_add_f64_e32 v[60:61], v[228:229], v[236:237]
	s_mov_b32 s26, 0x6ed5f1bb
	s_mov_b32 s27, 0xbfe348c8
	v_add_f64_e32 v[62:63], v[230:231], v[238:239]
	s_mov_b32 s40, 0x4363dd80
	s_mov_b32 s41, 0x3fe0d888
	;; [unrolled: 1-line block ×3, first 2 shown]
	s_wait_alu 0xfffe
	s_mov_b32 s38, s40
	v_add_f64_e32 v[68:69], v[204:205], v[240:241]
	v_mul_f64_e32 v[102:103], s[10:11], v[38:39]
	v_mul_f64_e32 v[28:29], s[20:21], v[38:39]
	;; [unrolled: 1-line block ×3, first 2 shown]
	s_mov_b32 s28, 0x910ea3b9
	s_mov_b32 s29, 0xbfeb34fa
	v_add_f64_e32 v[98:99], v[206:207], v[242:243]
	v_mul_f64_e32 v[108:109], s[18:19], v[96:97]
	s_mov_b32 s49, 0xbfc7851a
	s_mov_b32 s48, 0xacd6c6b4
	v_add_f64_e32 v[64:65], v[248:249], v[244:245]
	v_mul_f64_e32 v[110:111], s[34:35], v[42:43]
	v_add_f64_e32 v[66:67], v[250:251], v[246:247]
	s_mov_b32 s45, 0x3feec746
	s_mov_b32 s44, s46
	v_mul_f64_e32 v[118:119], s[20:21], v[40:41]
	s_mov_b32 s42, s24
	s_mov_b32 s51, 0x3fd71e95
	;; [unrolled: 1-line block ×3, first 2 shown]
	v_mul_f64_e32 v[116:117], s[46:47], v[52:53]
	v_fma_f64 v[0:1], v[14:15], s[2:3], -v[106:107]
	v_mul_f64_e32 v[56:57], s[22:23], v[50:51]
	v_fma_f64 v[2:3], v[34:35], s[10:11], -v[100:101]
	v_mul_f64_e32 v[10:11], s[26:27], v[62:63]
	v_fma_f64 v[4:5], v[32:33], s[16:17], v[102:103]
	scratch_store_b64 off, v[28:29], off offset:476 ; 8-byte Folded Spill
	v_fma_f64 v[28:29], v[32:33], s[34:35], v[28:29]
	v_add_f64_e32 v[0:1], v[184:185], v[0:1]
	scratch_store_b64 off, v[10:11], off offset:420 ; 8-byte Folded Spill
	v_add_f64_e32 v[0:1], v[2:3], v[0:1]
	v_mul_f64_e32 v[2:3], s[2:3], v[20:21]
	scratch_store_b64 off, v[2:3], off offset:492 ; 8-byte Folded Spill
	v_fma_f64 v[2:3], v[18:19], s[14:15], v[2:3]
	s_delay_alu instid0(VALU_DEP_1) | instskip(NEXT) | instid1(VALU_DEP_1)
	v_add_f64_e32 v[2:3], v[186:187], v[2:3]
	v_add_f64_e32 v[2:3], v[4:5], v[2:3]
	v_fma_f64 v[4:5], v[36:37], s[18:19], -v[104:105]
	s_delay_alu instid0(VALU_DEP_1) | instskip(SKIP_1) | instid1(VALU_DEP_1)
	v_add_f64_e32 v[0:1], v[4:5], v[0:1]
	v_fma_f64 v[4:5], v[44:45], s[24:25], v[108:109]
	v_add_f64_e32 v[2:3], v[4:5], v[2:3]
	v_fma_f64 v[4:5], v[48:49], s[20:21], -v[110:111]
	s_delay_alu instid0(VALU_DEP_1) | instskip(SKIP_1) | instid1(VALU_DEP_1)
	v_add_f64_e32 v[0:1], v[4:5], v[0:1]
	v_fma_f64 v[4:5], v[54:55], s[34:35], v[118:119]
	v_add_f64_e32 v[4:5], v[4:5], v[2:3]
	v_fma_f64 v[2:3], v[46:47], s[22:23], -v[116:117]
	s_delay_alu instid0(VALU_DEP_1) | instskip(SKIP_1) | instid1(VALU_DEP_1)
	v_add_f64_e32 v[6:7], v[2:3], v[0:1]
	v_add_f64_e64 v[2:3], v[224:225], -v[232:233]
	v_fma_f64 v[0:1], v[2:3], s[46:47], v[56:57]
	s_delay_alu instid0(VALU_DEP_1) | instskip(SKIP_1) | instid1(VALU_DEP_1)
	v_add_f64_e32 v[8:9], v[0:1], v[4:5]
	v_add_f64_e64 v[0:1], v[230:231], -v[238:239]
	v_mul_f64_e32 v[253:254], s[36:37], v[0:1]
	s_delay_alu instid0(VALU_DEP_1) | instskip(NEXT) | instid1(VALU_DEP_1)
	v_fma_f64 v[4:5], v[60:61], s[26:27], -v[253:254]
	v_add_f64_e32 v[6:7], v[4:5], v[6:7]
	v_add_f64_e64 v[4:5], v[228:229], -v[236:237]
	s_delay_alu instid0(VALU_DEP_1) | instskip(NEXT) | instid1(VALU_DEP_1)
	v_fma_f64 v[10:11], v[4:5], s[36:37], v[10:11]
	v_add_f64_e32 v[8:9], v[10:11], v[8:9]
	v_add_f64_e64 v[10:11], v[206:207], -v[242:243]
	s_wait_alu 0xfffe
	s_delay_alu instid0(VALU_DEP_1) | instskip(NEXT) | instid1(VALU_DEP_1)
	v_mul_f64_e32 v[58:59], s[38:39], v[10:11]
	v_fma_f64 v[12:13], v[68:69], s[28:29], -v[58:59]
	s_delay_alu instid0(VALU_DEP_1) | instskip(SKIP_4) | instid1(VALU_DEP_1)
	v_add_f64_e32 v[22:23], v[12:13], v[6:7]
	v_add_f64_e64 v[12:13], v[204:205], -v[240:241]
	v_mul_f64_e32 v[6:7], s[28:29], v[98:99]
	scratch_store_b64 off, v[6:7], off offset:460 ; 8-byte Folded Spill
	v_fma_f64 v[6:7], v[12:13], s[38:39], v[6:7]
	v_add_f64_e32 v[24:25], v[6:7], v[8:9]
	v_add_f64_e64 v[6:7], v[250:251], -v[246:247]
	s_delay_alu instid0(VALU_DEP_1) | instskip(SKIP_2) | instid1(VALU_DEP_1)
	v_mul_f64_e32 v[8:9], s[48:49], v[6:7]
	scratch_store_b64 off, v[8:9], off offset:452 ; 8-byte Folded Spill
	v_fma_f64 v[8:9], v[64:65], s[30:31], -v[8:9]
	v_add_f64_e32 v[176:177], v[8:9], v[22:23]
	v_add_f64_e64 v[8:9], v[248:249], -v[244:245]
	v_mul_f64_e32 v[22:23], s[30:31], v[66:67]
	scratch_store_b64 off, v[22:23], off offset:484 ; 8-byte Folded Spill
	v_fma_f64 v[22:23], v[8:9], s[48:49], v[22:23]
	s_delay_alu instid0(VALU_DEP_1)
	v_add_f64_e32 v[178:179], v[22:23], v[24:25]
	v_mul_f64_e32 v[22:23], s[16:17], v[16:17]
	v_mul_f64_e32 v[24:25], s[34:35], v[168:169]
	s_clause 0x1
	scratch_store_b64 off, v[22:23], off offset:596
	scratch_store_b64 off, v[24:25], off offset:436
	v_fma_f64 v[22:23], v[14:15], s[10:11], -v[22:23]
	v_fma_f64 v[24:25], v[34:35], s[20:21], -v[24:25]
	s_delay_alu instid0(VALU_DEP_2) | instskip(NEXT) | instid1(VALU_DEP_1)
	v_add_f64_e32 v[22:23], v[184:185], v[22:23]
	v_add_f64_e32 v[24:25], v[24:25], v[22:23]
	v_mul_f64_e32 v[22:23], s[10:11], v[20:21]
	s_delay_alu instid0(VALU_DEP_1) | instskip(NEXT) | instid1(VALU_DEP_1)
	v_fma_f64 v[26:27], v[18:19], s[16:17], v[22:23]
	v_add_f64_e32 v[26:27], v[186:187], v[26:27]
	s_delay_alu instid0(VALU_DEP_1) | instskip(SKIP_3) | instid1(VALU_DEP_1)
	v_add_f64_e32 v[26:27], v[28:29], v[26:27]
	v_mul_f64_e32 v[28:29], s[36:37], v[174:175]
	scratch_store_b64 off, v[28:29], off offset:468 ; 8-byte Folded Spill
	v_fma_f64 v[28:29], v[36:37], s[26:27], -v[28:29]
	v_add_f64_e32 v[24:25], v[28:29], v[24:25]
	v_mul_f64_e32 v[28:29], s[26:27], v[96:97]
	scratch_store_b64 off, v[28:29], off offset:548 ; 8-byte Folded Spill
	v_fma_f64 v[28:29], v[44:45], s[36:37], v[28:29]
	s_delay_alu instid0(VALU_DEP_1) | instskip(SKIP_3) | instid1(VALU_DEP_1)
	v_add_f64_e32 v[26:27], v[28:29], v[26:27]
	v_mul_f64_e32 v[28:29], s[48:49], v[42:43]
	scratch_store_b64 off, v[28:29], off offset:516 ; 8-byte Folded Spill
	v_fma_f64 v[28:29], v[48:49], s[30:31], -v[28:29]
	v_add_f64_e32 v[24:25], v[28:29], v[24:25]
	v_mul_f64_e32 v[28:29], s[30:31], v[40:41]
	scratch_store_b64 off, v[28:29], off offset:588 ; 8-byte Folded Spill
	v_fma_f64 v[28:29], v[54:55], s[48:49], v[28:29]
	;; [unrolled: 9-line block ×6, first 2 shown]
	s_delay_alu instid0(VALU_DEP_1)
	v_add_f64_e32 v[30:31], v[24:25], v[26:27]
	scratch_store_b128 off, v[28:31], off offset:12 ; 16-byte Folded Spill
	global_wb scope:SCOPE_SE
	s_wait_storecnt 0x0
	s_barrier_signal -1
	s_barrier_wait -1
	global_inv scope:SCOPE_SE
	s_and_saveexec_b32 s1, vcc_lo
	s_cbranch_execz .LBB0_17
; %bb.16:
	v_add_f64_e32 v[26:27], v[184:185], v[220:221]
	v_add_f64_e32 v[24:25], v[186:187], v[222:223]
	s_mov_b32 s55, 0x3fe58eea
	s_mov_b32 s54, s16
	;; [unrolled: 1-line block ×6, first 2 shown]
	s_delay_alu instid0(VALU_DEP_2) | instskip(NEXT) | instid1(VALU_DEP_2)
	v_add_f64_e32 v[26:27], v[26:27], v[216:217]
	v_add_f64_e32 v[24:25], v[24:25], v[218:219]
	s_delay_alu instid0(VALU_DEP_2) | instskip(NEXT) | instid1(VALU_DEP_2)
	v_add_f64_e32 v[26:27], v[26:27], v[208:209]
	v_add_f64_e32 v[24:25], v[24:25], v[210:211]
	v_mul_f64_e32 v[208:209], s[36:37], v[16:17]
	v_mul_f64_e32 v[210:211], s[46:47], v[16:17]
	s_delay_alu instid0(VALU_DEP_4) | instskip(NEXT) | instid1(VALU_DEP_4)
	v_add_f64_e32 v[26:27], v[26:27], v[212:213]
	v_add_f64_e32 v[24:25], v[24:25], v[214:215]
	s_delay_alu instid0(VALU_DEP_4)
	v_fma_f64 v[218:219], v[14:15], s[26:27], -v[208:209]
	v_fma_f64 v[208:209], v[14:15], s[26:27], v[208:209]
	v_fma_f64 v[220:221], v[14:15], s[22:23], -v[210:211]
	v_mul_f64_e32 v[212:213], s[34:35], v[16:17]
	v_fma_f64 v[210:211], v[14:15], s[22:23], v[210:211]
	v_add_f64_e32 v[26:27], v[26:27], v[224:225]
	v_add_f64_e32 v[24:25], v[24:25], v[226:227]
	s_delay_alu instid0(VALU_DEP_4) | instskip(SKIP_1) | instid1(VALU_DEP_4)
	v_fma_f64 v[222:223], v[14:15], s[20:21], -v[212:213]
	v_fma_f64 v[212:213], v[14:15], s[20:21], v[212:213]
	v_add_f64_e32 v[26:27], v[26:27], v[228:229]
	s_delay_alu instid0(VALU_DEP_4) | instskip(NEXT) | instid1(VALU_DEP_2)
	v_add_f64_e32 v[24:25], v[24:25], v[230:231]
	v_add_f64_e32 v[26:27], v[26:27], v[204:205]
	s_delay_alu instid0(VALU_DEP_2)
	v_add_f64_e32 v[24:25], v[24:25], v[206:207]
	scratch_load_b64 v[204:205], off, off offset:596 th:TH_LOAD_LU ; 8-byte Folded Reload
	v_mul_f64_e32 v[206:207], s[38:39], v[16:17]
	v_add_f64_e32 v[26:27], v[26:27], v[248:249]
	v_add_f64_e32 v[24:25], v[24:25], v[250:251]
	v_mul_f64_e32 v[248:249], s[46:47], v[10:11]
	s_delay_alu instid0(VALU_DEP_4)
	v_fma_f64 v[216:217], v[14:15], s[28:29], -v[206:207]
	v_fma_f64 v[206:207], v[14:15], s[28:29], v[206:207]
	s_wait_alu 0xfffe
	v_mul_f64_e32 v[250:251], s[52:53], v[8:9]
	v_add_f64_e32 v[26:27], v[26:27], v[244:245]
	v_add_f64_e32 v[24:25], v[24:25], v[246:247]
	v_mul_f64_e32 v[244:245], s[42:43], v[0:1]
	v_add_f64_e32 v[216:217], v[184:185], v[216:217]
	v_add_f64_e32 v[206:207], v[184:185], v[206:207]
	;; [unrolled: 3-line block ×3, first 2 shown]
	v_mul_f64_e32 v[240:241], s[36:37], v[52:53]
	v_mul_f64_e32 v[242:243], s[42:43], v[4:5]
	s_delay_alu instid0(VALU_DEP_4) | instskip(NEXT) | instid1(VALU_DEP_4)
	v_add_f64_e32 v[26:27], v[26:27], v[236:237]
	v_add_f64_e32 v[24:25], v[24:25], v[238:239]
	s_delay_alu instid0(VALU_DEP_2) | instskip(NEXT) | instid1(VALU_DEP_2)
	v_add_f64_e32 v[26:27], v[26:27], v[232:233]
	v_add_f64_e32 v[24:25], v[24:25], v[234:235]
	;; [unrolled: 1-line block ×4, first 2 shown]
	s_delay_alu instid0(VALU_DEP_4) | instskip(NEXT) | instid1(VALU_DEP_4)
	v_add_f64_e32 v[26:27], v[26:27], v[196:197]
	v_add_f64_e32 v[24:25], v[24:25], v[198:199]
	v_mul_f64_e32 v[196:197], s[34:35], v[18:19]
	s_delay_alu instid0(VALU_DEP_3)
	v_add_f64_e32 v[26:27], v[26:27], v[188:189]
	v_dual_mov_b32 v189, v57 :: v_dual_mov_b32 v188, v56
	v_mul_f64_e32 v[56:57], s[36:37], v[18:19]
	v_add_f64_e32 v[24:25], v[24:25], v[190:191]
	v_dual_mov_b32 v191, v59 :: v_dual_mov_b32 v190, v58
	v_fma_f64 v[198:199], v[20:21], s[20:21], v[196:197]
	v_fma_f64 v[196:197], v[20:21], s[20:21], -v[196:197]
	v_add_f64_e32 v[26:27], v[26:27], v[200:201]
	v_mul_f64_e32 v[200:201], s[24:25], v[18:19]
	v_fma_f64 v[58:59], v[20:21], s[26:27], v[56:57]
	v_fma_f64 v[56:57], v[20:21], s[26:27], -v[56:57]
	v_add_f64_e32 v[24:25], v[24:25], v[202:203]
	v_add_f64_e32 v[26:27], v[26:27], v[192:193]
	v_mul_f64_e32 v[192:193], s[46:47], v[18:19]
	v_fma_f64 v[202:203], v[20:21], s[18:19], v[200:201]
	v_add_f64_e32 v[58:59], v[186:187], v[58:59]
	v_add_f64_e32 v[56:57], v[186:187], v[56:57]
	;; [unrolled: 1-line block ×3, first 2 shown]
	v_mul_f64_e32 v[24:25], s[48:49], v[18:19]
	v_fma_f64 v[194:195], v[20:21], s[22:23], v[192:193]
	v_fma_f64 v[192:193], v[20:21], s[22:23], -v[192:193]
	scratch_store_b64 off, v[56:57], off offset:732 ; 8-byte Folded Spill
	v_add_f64_e32 v[56:57], v[184:185], v[208:209]
	v_add_f64_e32 v[208:209], v[186:187], v[196:197]
	;; [unrolled: 1-line block ×3, first 2 shown]
	v_mul_f64_e32 v[192:193], s[38:39], v[174:175]
	scratch_store_b64 off, v[56:57], off offset:724 ; 8-byte Folded Spill
	v_add_f64_e32 v[56:57], v[186:187], v[194:195]
	v_mul_f64_e32 v[194:195], s[54:55], v[54:55]
	scratch_store_b64 off, v[56:57], off offset:684 ; 8-byte Folded Spill
	v_add_f64_e32 v[56:57], v[184:185], v[220:221]
	scratch_store_b64 off, v[56:57], off offset:676 ; 8-byte Folded Spill
	v_add_f64_e32 v[56:57], v[186:187], v[198:199]
	;; [unrolled: 2-line block ×5, first 2 shown]
	scratch_store_b128 off, v[26:29], off offset:604 ; 16-byte Folded Spill
	v_mul_f64_e32 v[28:29], s[38:39], v[18:19]
	v_fma_f64 v[26:27], v[20:21], s[30:31], v[24:25]
	v_fma_f64 v[24:25], v[20:21], s[30:31], -v[24:25]
	v_mul_f64_e32 v[202:203], s[54:55], v[42:43]
	scratch_store_b64 off, v[56:57], off offset:620 ; 8-byte Folded Spill
	v_fma_f64 v[30:31], v[20:21], s[28:29], v[28:29]
	v_fma_f64 v[28:29], v[20:21], s[28:29], -v[28:29]
	v_fma_f64 v[20:21], v[20:21], s[18:19], -v[200:201]
	v_mul_f64_e32 v[200:201], s[16:17], v[18:19]
	v_mul_f64_e32 v[18:19], s[14:15], v[18:19]
	v_add_f64_e32 v[26:27], v[186:187], v[26:27]
	v_add_f64_e32 v[24:25], v[186:187], v[24:25]
	;; [unrolled: 1-line block ×5, first 2 shown]
	v_add_f64_e64 v[22:23], v[22:23], -v[200:201]
	v_mul_f64_e32 v[200:201], s[10:11], v[14:15]
	s_delay_alu instid0(VALU_DEP_2) | instskip(SKIP_1) | instid1(VALU_DEP_2)
	v_add_f64_e32 v[22:23], v[186:187], v[22:23]
	s_wait_loadcnt 0x0
	v_add_f64_e32 v[200:201], v[200:201], v[204:205]
	scratch_load_b64 v[204:205], off, off offset:492 th:TH_LOAD_LU ; 8-byte Folded Reload
	v_add_f64_e32 v[200:201], v[184:185], v[200:201]
	s_wait_loadcnt 0x0
	v_add_f64_e64 v[18:19], v[204:205], -v[18:19]
	v_mul_f64_e32 v[204:205], s[48:49], v[16:17]
	v_mul_f64_e32 v[16:17], s[24:25], v[16:17]
	s_delay_alu instid0(VALU_DEP_3) | instskip(NEXT) | instid1(VALU_DEP_3)
	v_add_f64_e32 v[196:197], v[186:187], v[18:19]
	v_fma_f64 v[214:215], v[14:15], s[30:31], -v[204:205]
	v_fma_f64 v[204:205], v[14:15], s[30:31], v[204:205]
	s_delay_alu instid0(VALU_DEP_4)
	v_fma_f64 v[224:225], v[14:15], s[18:19], -v[16:17]
	v_fma_f64 v[16:17], v[14:15], s[18:19], v[16:17]
	v_mul_f64_e32 v[14:15], s[2:3], v[14:15]
	v_mul_f64_e32 v[18:19], s[50:51], v[168:169]
	v_add_f64_e32 v[214:215], v[184:185], v[214:215]
	v_add_f64_e32 v[204:205], v[184:185], v[204:205]
	;; [unrolled: 1-line block ×5, first 2 shown]
	v_fma_f64 v[20:21], v[34:35], s[2:3], -v[18:19]
	scratch_store_b64 off, v[58:59], off offset:692 ; 8-byte Folded Spill
	v_fma_f64 v[18:19], v[34:35], s[2:3], v[18:19]
	v_mul_f64_e32 v[106:107], s[14:15], v[4:5]
	scratch_store_b64 off, v[56:57], off offset:596 ; 8-byte Folded Spill
	v_add_f64_e32 v[198:199], v[184:185], v[14:15]
	v_mul_f64_e32 v[14:15], s[50:51], v[32:33]
	v_add_f64_e32 v[20:21], v[20:21], v[214:215]
	v_mul_f64_e32 v[214:215], s[36:37], v[2:3]
	v_add_f64_e32 v[18:19], v[18:19], v[204:205]
	s_delay_alu instid0(VALU_DEP_4) | instskip(SKIP_1) | instid1(VALU_DEP_2)
	v_fma_f64 v[16:17], v[38:39], s[2:3], v[14:15]
	v_fma_f64 v[14:15], v[38:39], s[2:3], -v[14:15]
	v_add_f64_e32 v[16:17], v[16:17], v[26:27]
	v_mul_f64_e32 v[26:27], s[38:39], v[44:45]
	s_delay_alu instid0(VALU_DEP_3) | instskip(NEXT) | instid1(VALU_DEP_2)
	v_add_f64_e32 v[14:15], v[14:15], v[24:25]
	v_fma_f64 v[184:185], v[96:97], s[28:29], v[26:27]
	s_delay_alu instid0(VALU_DEP_1) | instskip(SKIP_1) | instid1(VALU_DEP_1)
	v_add_f64_e32 v[16:17], v[184:185], v[16:17]
	v_fma_f64 v[184:185], v[36:37], s[28:29], -v[192:193]
	v_add_f64_e32 v[20:21], v[184:185], v[20:21]
	v_fma_f64 v[184:185], v[40:41], s[10:11], v[194:195]
	s_delay_alu instid0(VALU_DEP_1) | instskip(SKIP_1) | instid1(VALU_DEP_1)
	v_add_f64_e32 v[16:17], v[184:185], v[16:17]
	v_fma_f64 v[184:185], v[48:49], s[10:11], -v[202:203]
	;; [unrolled: 5-line block ×5, first 2 shown]
	v_add_f64_e32 v[20:21], v[184:185], v[20:21]
	v_fma_f64 v[184:185], v[66:67], s[20:21], v[250:251]
	s_delay_alu instid0(VALU_DEP_1) | instskip(SKIP_1) | instid1(VALU_DEP_1)
	v_add_f64_e32 v[58:59], v[184:185], v[16:17]
	v_mul_f64_e32 v[16:17], s[52:53], v[6:7]
	v_fma_f64 v[184:185], v[64:65], s[20:21], -v[16:17]
	v_fma_f64 v[24:25], v[64:65], s[20:21], v[16:17]
	s_delay_alu instid0(VALU_DEP_2)
	v_add_f64_e32 v[56:57], v[184:185], v[20:21]
	v_fma_f64 v[20:21], v[96:97], s[28:29], -v[26:27]
	v_mul_f64_e32 v[26:27], s[42:43], v[168:169]
	v_dual_mov_b32 v187, v163 :: v_dual_mov_b32 v184, v160
	v_dual_mov_b32 v185, v161 :: v_dual_mov_b32 v186, v162
	;; [unrolled: 1-line block ×9, first 2 shown]
	v_mov_b32_e32 v134, v130
	v_add_f64_e32 v[14:15], v[20:21], v[14:15]
	v_fma_f64 v[20:21], v[36:37], s[28:29], v[192:193]
	s_delay_alu instid0(VALU_DEP_1) | instskip(SKIP_1) | instid1(VALU_DEP_1)
	v_add_f64_e32 v[18:19], v[20:21], v[18:19]
	v_fma_f64 v[20:21], v[40:41], s[10:11], -v[194:195]
	v_add_f64_e32 v[14:15], v[20:21], v[14:15]
	v_fma_f64 v[20:21], v[48:49], s[10:11], v[202:203]
	s_delay_alu instid0(VALU_DEP_1) | instskip(SKIP_1) | instid1(VALU_DEP_1)
	v_add_f64_e32 v[18:19], v[20:21], v[18:19]
	v_fma_f64 v[20:21], v[50:51], s[26:27], -v[214:215]
	;; [unrolled: 5-line block ×4, first 2 shown]
	v_add_f64_e32 v[14:15], v[20:21], v[14:15]
	v_fma_f64 v[20:21], v[68:69], s[22:23], v[248:249]
	v_mul_f64_e32 v[248:249], s[46:47], v[8:9]
	s_delay_alu instid0(VALU_DEP_2) | instskip(SKIP_2) | instid1(VALU_DEP_2)
	v_add_f64_e32 v[18:19], v[20:21], v[18:19]
	v_fma_f64 v[20:21], v[66:67], s[20:21], -v[250:251]
	v_mul_f64_e32 v[250:251], s[46:47], v[6:7]
	v_add_f64_e32 v[16:17], v[20:21], v[14:15]
	s_delay_alu instid0(VALU_DEP_4)
	v_add_f64_e32 v[14:15], v[24:25], v[18:19]
	v_mul_f64_e32 v[24:25], s[42:43], v[32:33]
	v_fma_f64 v[20:21], v[34:35], s[18:19], -v[26:27]
	v_fma_f64 v[26:27], v[34:35], s[18:19], v[26:27]
	s_clause 0x1
	scratch_store_b128 off, v[56:59], off offset:492
	scratch_store_b128 off, v[14:17], off offset:628
	v_fma_f64 v[18:19], v[38:39], s[18:19], v[24:25]
	v_add_f64_e32 v[20:21], v[20:21], v[216:217]
	v_fma_f64 v[24:25], v[38:39], s[18:19], -v[24:25]
	v_add_f64_e32 v[26:27], v[26:27], v[206:207]
	v_mul_f64_e32 v[206:207], s[46:47], v[2:3]
	v_add_f64_e32 v[18:19], v[18:19], v[30:31]
	v_mul_f64_e32 v[30:31], s[34:35], v[44:45]
	v_add_f64_e32 v[24:25], v[24:25], v[28:29]
	s_delay_alu instid0(VALU_DEP_4) | instskip(SKIP_1) | instid1(VALU_DEP_4)
	v_add_f64_e64 v[206:207], v[188:189], -v[206:207]
	v_dual_mov_b32 v189, v47 :: v_dual_mov_b32 v188, v46
	v_fma_f64 v[192:193], v[96:97], s[20:21], v[30:31]
	v_fma_f64 v[28:29], v[96:97], s[20:21], -v[30:31]
	v_fma_f64 v[30:31], v[64:65], s[22:23], v[250:251]
	s_delay_alu instid0(VALU_DEP_3) | instskip(SKIP_1) | instid1(VALU_DEP_4)
	v_add_f64_e32 v[18:19], v[192:193], v[18:19]
	v_mul_f64_e32 v[192:193], s[34:35], v[174:175]
	v_add_f64_e32 v[24:25], v[28:29], v[24:25]
	s_delay_alu instid0(VALU_DEP_2) | instskip(SKIP_1) | instid1(VALU_DEP_2)
	v_fma_f64 v[194:195], v[36:37], s[20:21], -v[192:193]
	v_fma_f64 v[28:29], v[36:37], s[20:21], v[192:193]
	v_add_f64_e32 v[20:21], v[194:195], v[20:21]
	v_mul_f64_e32 v[194:195], s[56:57], v[54:55]
	s_delay_alu instid0(VALU_DEP_3) | instskip(NEXT) | instid1(VALU_DEP_2)
	v_add_f64_e32 v[26:27], v[28:29], v[26:27]
	v_fma_f64 v[202:203], v[40:41], s[26:27], v[194:195]
	v_fma_f64 v[28:29], v[40:41], s[26:27], -v[194:195]
	v_dual_mov_b32 v195, v61 :: v_dual_mov_b32 v194, v60
	s_delay_alu instid0(VALU_DEP_3) | instskip(SKIP_1) | instid1(VALU_DEP_4)
	v_add_f64_e32 v[18:19], v[202:203], v[18:19]
	v_mul_f64_e32 v[202:203], s[56:57], v[42:43]
	v_add_f64_e32 v[24:25], v[28:29], v[24:25]
	s_delay_alu instid0(VALU_DEP_2) | instskip(SKIP_2) | instid1(VALU_DEP_3)
	v_fma_f64 v[204:205], v[48:49], s[26:27], -v[202:203]
	v_fma_f64 v[28:29], v[48:49], s[26:27], v[202:203]
	v_mul_f64_e32 v[202:203], s[18:19], v[36:37]
	v_add_f64_e32 v[20:21], v[204:205], v[20:21]
	v_mul_f64_e32 v[204:205], s[14:15], v[2:3]
	s_delay_alu instid0(VALU_DEP_4) | instskip(NEXT) | instid1(VALU_DEP_4)
	v_add_f64_e32 v[26:27], v[28:29], v[26:27]
	v_add_f64_e32 v[202:203], v[202:203], v[104:105]
	v_mul_f64_e32 v[104:105], s[14:15], v[0:1]
	s_delay_alu instid0(VALU_DEP_4) | instskip(SKIP_2) | instid1(VALU_DEP_3)
	v_fma_f64 v[214:215], v[50:51], s[2:3], v[204:205]
	v_fma_f64 v[28:29], v[50:51], s[2:3], -v[204:205]
	v_mul_f64_e32 v[204:205], s[10:11], v[34:35]
	v_add_f64_e32 v[18:19], v[214:215], v[18:19]
	v_mul_f64_e32 v[214:215], s[14:15], v[52:53]
	s_delay_alu instid0(VALU_DEP_4) | instskip(NEXT) | instid1(VALU_DEP_4)
	v_add_f64_e32 v[24:25], v[28:29], v[24:25]
	v_add_f64_e32 v[204:205], v[204:205], v[100:101]
	v_mul_f64_e32 v[100:101], s[54:55], v[52:53]
	s_delay_alu instid0(VALU_DEP_4) | instskip(SKIP_2) | instid1(VALU_DEP_3)
	v_fma_f64 v[216:217], v[46:47], s[2:3], -v[214:215]
	v_fma_f64 v[28:29], v[46:47], s[2:3], v[214:215]
	v_mul_f64_e32 v[214:215], s[22:23], v[46:47]
	v_add_f64_e32 v[20:21], v[216:217], v[20:21]
	v_mul_f64_e32 v[216:217], s[48:49], v[4:5]
	s_delay_alu instid0(VALU_DEP_4) | instskip(NEXT) | instid1(VALU_DEP_4)
	v_add_f64_e32 v[26:27], v[28:29], v[26:27]
	v_add_f64_e32 v[214:215], v[214:215], v[116:117]
	v_dual_mov_b32 v117, v67 :: v_dual_mov_b32 v116, v66
	s_delay_alu instid0(VALU_DEP_4) | instskip(SKIP_2) | instid1(VALU_DEP_3)
	v_fma_f64 v[240:241], v[62:63], s[30:31], v[216:217]
	v_fma_f64 v[28:29], v[62:63], s[30:31], -v[216:217]
	v_mul_f64_e32 v[216:217], s[36:37], v[4:5]
	v_add_f64_e32 v[18:19], v[240:241], v[18:19]
	v_mul_f64_e32 v[240:241], s[48:49], v[0:1]
	s_delay_alu instid0(VALU_DEP_4) | instskip(NEXT) | instid1(VALU_DEP_2)
	v_add_f64_e32 v[24:25], v[28:29], v[24:25]
	v_fma_f64 v[242:243], v[60:61], s[30:31], -v[240:241]
	v_fma_f64 v[28:29], v[60:61], s[30:31], v[240:241]
	v_mul_f64_e32 v[240:241], s[48:49], v[52:53]
	s_delay_alu instid0(VALU_DEP_3) | instskip(SKIP_1) | instid1(VALU_DEP_4)
	v_add_f64_e32 v[20:21], v[242:243], v[20:21]
	v_mul_f64_e32 v[242:243], s[54:55], v[12:13]
	v_add_f64_e32 v[26:27], v[28:29], v[26:27]
	s_delay_alu instid0(VALU_DEP_2) | instskip(SKIP_1) | instid1(VALU_DEP_2)
	v_fma_f64 v[244:245], v[98:99], s[10:11], v[242:243]
	v_fma_f64 v[28:29], v[98:99], s[10:11], -v[242:243]
	v_add_f64_e32 v[18:19], v[244:245], v[18:19]
	v_mul_f64_e32 v[244:245], s[54:55], v[10:11]
	s_delay_alu instid0(VALU_DEP_3) | instskip(NEXT) | instid1(VALU_DEP_2)
	v_add_f64_e32 v[24:25], v[28:29], v[24:25]
	v_fma_f64 v[246:247], v[68:69], s[10:11], -v[244:245]
	v_fma_f64 v[28:29], v[68:69], s[10:11], v[244:245]
	v_dual_mov_b32 v245, v155 :: v_dual_mov_b32 v244, v154
	v_dual_mov_b32 v243, v153 :: v_dual_mov_b32 v242, v152
	;; [unrolled: 1-line block ×4, first 2 shown]
	v_mul_f64_e32 v[84:85], s[38:39], v[4:5]
	v_add_f64_e32 v[246:247], v[246:247], v[20:21]
	v_fma_f64 v[20:21], v[66:67], s[22:23], v[248:249]
	v_add_f64_e32 v[26:27], v[28:29], v[26:27]
	v_fma_f64 v[28:29], v[66:67], s[22:23], -v[248:249]
	v_mul_f64_e32 v[248:249], s[44:45], v[42:43]
	v_fma_f64 v[66:67], v[60:61], s[2:3], v[104:105]
	v_add_f64_e32 v[16:17], v[20:21], v[18:19]
	v_fma_f64 v[18:19], v[64:65], s[22:23], -v[250:251]
	v_mul_f64_e32 v[250:251], s[54:55], v[2:3]
	s_delay_alu instid0(VALU_DEP_2)
	v_add_f64_e32 v[14:15], v[18:19], v[246:247]
	v_mul_f64_e32 v[246:247], s[44:45], v[54:55]
	v_dual_mov_b32 v18, v78 :: v_dual_mov_b32 v19, v79
	v_dual_mov_b32 v20, v80 :: v_dual_mov_b32 v21, v81
	v_mul_f64_e32 v[80:81], s[24:25], v[2:3]
	scratch_store_b128 off, v[14:17], off offset:660 ; 16-byte Folded Spill
	v_add_f64_e32 v[16:17], v[28:29], v[24:25]
	v_add_f64_e32 v[14:15], v[30:31], v[26:27]
	v_mul_f64_e32 v[28:29], s[16:17], v[32:33]
	v_mul_f64_e32 v[26:27], s[24:25], v[44:45]
	;; [unrolled: 1-line block ×4, first 2 shown]
	v_fma_f64 v[82:83], v[50:51], s[18:19], -v[80:81]
	scratch_store_b128 off, v[14:17], off offset:708 ; 16-byte Folded Spill
	scratch_load_b64 v[14:15], off, off offset:420 th:TH_LOAD_LU ; 8-byte Folded Reload
	v_add_f64_e64 v[28:29], v[102:103], -v[28:29]
	v_add_f64_e64 v[26:27], v[108:109], -v[26:27]
	;; [unrolled: 1-line block ×3, first 2 shown]
	v_add_f64_e32 v[30:31], v[30:31], v[110:111]
	v_mul_f64_e32 v[118:119], s[36:37], v[32:33]
	v_mul_f64_e32 v[16:17], s[34:35], v[10:11]
	v_dual_mov_b32 v108, v164 :: v_dual_mov_b32 v109, v165
	v_dual_mov_b32 v110, v166 :: v_dual_mov_b32 v111, v167
	;; [unrolled: 1-line block ×5, first 2 shown]
	v_mul_f64_e32 v[102:103], s[34:35], v[12:13]
	v_dual_mov_b32 v145, v71 :: v_dual_mov_b32 v144, v70
	v_mul_f64_e32 v[72:73], s[44:45], v[44:45]
	scratch_store_b128 off, v[180:183], off offset:420 ; 16-byte Folded Spill
	v_dual_mov_b32 v183, v115 :: v_dual_mov_b32 v182, v114
	v_dual_mov_b32 v181, v113 :: v_dual_mov_b32 v180, v112
	;; [unrolled: 1-line block ×6, first 2 shown]
	v_mul_f64_e32 v[88:89], s[56:57], v[12:13]
	v_add_f64_e32 v[28:29], v[28:29], v[196:197]
	v_add_f64_e32 v[196:197], v[204:205], v[198:199]
	v_mul_f64_e32 v[198:199], s[26:27], v[60:61]
	v_mul_f64_e32 v[204:205], s[20:21], v[34:35]
	v_fma_f64 v[70:71], v[68:69], s[20:21], v[16:17]
	v_add_f64_e32 v[26:27], v[26:27], v[28:29]
	v_add_f64_e32 v[28:29], v[202:203], v[196:197]
	v_mul_f64_e32 v[196:197], s[38:39], v[12:13]
	v_add_f64_e32 v[198:199], v[198:199], v[253:254]
	v_mul_f64_e32 v[253:254], s[36:37], v[168:169]
	v_add_f64_e32 v[24:25], v[24:25], v[26:27]
	v_add_f64_e32 v[26:27], v[30:31], v[28:29]
	v_mul_f64_e32 v[30:31], s[48:49], v[8:9]
	v_mul_f64_e32 v[28:29], s[28:29], v[68:69]
	s_delay_alu instid0(VALU_DEP_4) | instskip(NEXT) | instid1(VALU_DEP_4)
	v_add_f64_e32 v[24:25], v[206:207], v[24:25]
	v_add_f64_e32 v[26:27], v[214:215], v[26:27]
	v_mul_f64_e32 v[206:207], s[40:41], v[2:3]
	s_delay_alu instid0(VALU_DEP_4) | instskip(SKIP_4) | instid1(VALU_DEP_2)
	v_add_f64_e32 v[28:29], v[28:29], v[190:191]
	v_mul_f64_e32 v[214:215], s[28:29], v[46:47]
	v_dual_mov_b32 v191, v97 :: v_dual_mov_b32 v190, v96
	v_add_f64_e32 v[26:27], v[198:199], v[26:27]
	v_mul_f64_e32 v[198:199], s[30:31], v[64:65]
	v_add_f64_e32 v[26:27], v[28:29], v[26:27]
	v_mul_f64_e32 v[28:29], s[34:35], v[32:33]
	s_wait_loadcnt 0x0
	v_add_f64_e64 v[216:217], v[14:15], -v[216:217]
	scratch_load_b64 v[14:15], off, off offset:460 th:TH_LOAD_LU ; 8-byte Folded Reload
	v_add_f64_e32 v[24:25], v[216:217], v[24:25]
	v_mul_f64_e32 v[216:217], s[44:45], v[4:5]
	s_wait_loadcnt 0x0
	v_add_f64_e64 v[196:197], v[14:15], -v[196:197]
	scratch_load_b64 v[14:15], off, off offset:484 th:TH_LOAD_LU ; 8-byte Folded Reload
	v_add_f64_e32 v[24:25], v[196:197], v[24:25]
	s_wait_loadcnt 0x0
	v_add_f64_e64 v[30:31], v[14:15], -v[30:31]
	scratch_load_b64 v[14:15], off, off offset:452 th:TH_LOAD_LU ; 8-byte Folded Reload
	s_wait_loadcnt 0x0
	v_add_f64_e32 v[202:203], v[198:199], v[14:15]
	scratch_load_b64 v[14:15], off, off offset:588 th:TH_LOAD_LU ; 8-byte Folded Reload
	v_add_f64_e32 v[198:199], v[30:31], v[24:25]
	v_mul_f64_e32 v[24:25], s[48:49], v[54:55]
	v_mul_f64_e32 v[30:31], s[30:31], v[48:49]
	v_add_f64_e32 v[196:197], v[202:203], v[26:27]
	v_mul_f64_e32 v[26:27], s[36:37], v[44:45]
	v_mul_f64_e32 v[202:203], s[26:27], v[36:37]
	s_wait_loadcnt 0x0
	v_add_f64_e64 v[24:25], v[14:15], -v[24:25]
	scratch_load_b64 v[14:15], off, off offset:548 th:TH_LOAD_LU ; 8-byte Folded Reload
	s_wait_loadcnt 0x0
	v_add_f64_e64 v[26:27], v[14:15], -v[26:27]
	scratch_load_b64 v[14:15], off, off offset:476 th:TH_LOAD_LU ; 8-byte Folded Reload
	s_wait_loadcnt 0x0
	v_add_f64_e64 v[28:29], v[14:15], -v[28:29]
	scratch_load_b64 v[14:15], off, off offset:516 th:TH_LOAD_LU ; 8-byte Folded Reload
	v_add_f64_e32 v[22:23], v[28:29], v[22:23]
	s_delay_alu instid0(VALU_DEP_1) | instskip(NEXT) | instid1(VALU_DEP_1)
	v_add_f64_e32 v[22:23], v[26:27], v[22:23]
	v_add_f64_e32 v[22:23], v[24:25], v[22:23]
	s_wait_loadcnt 0x0
	v_add_f64_e32 v[30:31], v[30:31], v[14:15]
	scratch_load_b64 v[14:15], off, off offset:468 th:TH_LOAD_LU ; 8-byte Folded Reload
	s_wait_loadcnt 0x0
	v_add_f64_e32 v[202:203], v[202:203], v[14:15]
	scratch_load_b64 v[14:15], off, off offset:436 th:TH_LOAD_LU ; 8-byte Folded Reload
	scratch_store_b128 off, v[176:179], off offset:436 ; 16-byte Folded Spill
	v_dual_mov_b32 v179, v95 :: v_dual_mov_b32 v178, v94
	v_dual_mov_b32 v177, v93 :: v_dual_mov_b32 v176, v92
	v_mul_f64_e32 v[92:93], s[54:55], v[8:9]
	s_delay_alu instid0(VALU_DEP_1)
	v_fma_f64 v[94:95], v[116:117], s[10:11], -v[92:93]
	s_wait_loadcnt 0x0
	v_add_f64_e32 v[204:205], v[204:205], v[14:15]
	scratch_load_b64 v[14:15], off, off offset:556 th:TH_LOAD_LU ; 8-byte Folded Reload
	v_add_f64_e32 v[28:29], v[204:205], v[200:201]
	v_mul_f64_e32 v[200:201], s[22:23], v[60:61]
	s_delay_alu instid0(VALU_DEP_2) | instskip(SKIP_1) | instid1(VALU_DEP_2)
	v_add_f64_e32 v[26:27], v[202:203], v[28:29]
	v_mul_f64_e32 v[28:29], s[42:43], v[12:13]
	v_add_f64_e32 v[24:25], v[30:31], v[26:27]
	v_mul_f64_e32 v[26:27], s[18:19], v[68:69]
	v_mul_f64_e32 v[30:31], s[50:51], v[8:9]
	s_wait_loadcnt 0x0
	v_add_f64_e64 v[206:207], v[14:15], -v[206:207]
	scratch_load_b64 v[14:15], off, off offset:508 th:TH_LOAD_LU ; 8-byte Folded Reload
	v_add_f64_e32 v[22:23], v[206:207], v[22:23]
	s_wait_loadcnt 0x0
	v_add_f64_e32 v[214:215], v[214:215], v[14:15]
	scratch_load_b64 v[14:15], off, off offset:564 th:TH_LOAD_LU ; 8-byte Folded Reload
	v_add_f64_e32 v[24:25], v[214:215], v[24:25]
	v_mul_f64_e32 v[214:215], s[48:49], v[168:169]
	s_wait_loadcnt 0x0
	v_add_f64_e64 v[216:217], v[14:15], -v[216:217]
	scratch_load_b64 v[14:15], off, off offset:524 th:TH_LOAD_LU ; 8-byte Folded Reload
	v_add_f64_e32 v[22:23], v[216:217], v[22:23]
	v_mul_f64_e32 v[216:217], s[48:49], v[12:13]
	s_wait_loadcnt 0x0
	v_add_f64_e32 v[200:201], v[200:201], v[14:15]
	scratch_load_b64 v[14:15], off, off offset:572 th:TH_LOAD_LU ; 8-byte Folded Reload
	v_add_f64_e32 v[24:25], v[200:201], v[24:25]
	v_mul_f64_e32 v[200:201], s[2:3], v[64:65]
	s_wait_loadcnt 0x0
	v_add_f64_e64 v[28:29], v[14:15], -v[28:29]
	scratch_load_b64 v[14:15], off, off offset:532 th:TH_LOAD_LU ; 8-byte Folded Reload
	v_add_f64_e32 v[22:23], v[28:29], v[22:23]
	v_fma_f64 v[28:29], v[34:35], s[26:27], v[253:254]
	s_delay_alu instid0(VALU_DEP_1)
	v_add_f64_e32 v[28:29], v[28:29], v[238:239]
	v_mul_f64_e32 v[238:239], s[48:49], v[2:3]
	s_wait_loadcnt 0x0
	v_add_f64_e32 v[26:27], v[26:27], v[14:15]
	scratch_load_b64 v[14:15], off, off offset:580 th:TH_LOAD_LU ; 8-byte Folded Reload
	v_add_f64_e32 v[24:25], v[26:27], v[24:25]
	s_wait_loadcnt 0x0
	v_add_f64_e64 v[30:31], v[14:15], -v[30:31]
	scratch_load_b64 v[14:15], off, off offset:540 th:TH_LOAD_LU ; 8-byte Folded Reload
	s_clause 0x1
	scratch_store_b32 off, v255, off offset:452
	scratch_store_b32 off, v90, off offset:460
	v_mov_b32_e32 v255, v91
	v_fma_f64 v[90:91], v[98:99], s[26:27], -v[88:89]
	v_add_f64_e32 v[202:203], v[30:31], v[22:23]
	v_mul_f64_e32 v[30:31], s[48:49], v[32:33]
	s_wait_loadcnt 0x0
	v_add_f64_e32 v[200:201], v[200:201], v[14:15]
	v_dual_mov_b32 v14, v62 :: v_dual_mov_b32 v15, v63
	v_fma_f64 v[62:63], v[46:47], s[10:11], v[100:101]
	v_mul_f64_e32 v[46:47], s[38:39], v[6:7]
	s_delay_alu instid0(VALU_DEP_3) | instskip(SKIP_2) | instid1(VALU_DEP_1)
	v_fma_f64 v[86:87], v[14:15], s[28:29], -v[84:85]
	v_add_f64_e32 v[200:201], v[200:201], v[24:25]
	v_fma_f64 v[24:25], v[38:39], s[26:27], -v[118:119]
	v_add_f64_e32 v[24:25], v[24:25], v[236:237]
	v_mul_f64_e32 v[236:237], s[48:49], v[10:11]
	s_mov_b32 s49, 0x3fc7851a
	s_wait_alu 0xfffe
	v_mul_f64_e32 v[26:27], s[48:49], v[44:45]
	v_mul_f64_e32 v[192:193], s[48:49], v[174:175]
	s_delay_alu instid0(VALU_DEP_2) | instskip(SKIP_1) | instid1(VALU_DEP_2)
	v_fma_f64 v[204:205], v[96:97], s[30:31], -v[26:27]
	v_fma_f64 v[26:27], v[190:191], s[30:31], v[26:27]
	v_add_f64_e32 v[24:25], v[204:205], v[24:25]
	s_delay_alu instid0(VALU_DEP_4) | instskip(NEXT) | instid1(VALU_DEP_1)
	v_fma_f64 v[204:205], v[36:37], s[30:31], v[192:193]
	v_add_f64_e32 v[28:29], v[204:205], v[28:29]
	v_fma_f64 v[204:205], v[40:41], s[22:23], -v[246:247]
	s_delay_alu instid0(VALU_DEP_1) | instskip(SKIP_1) | instid1(VALU_DEP_1)
	v_add_f64_e32 v[24:25], v[204:205], v[24:25]
	v_fma_f64 v[204:205], v[48:49], s[22:23], v[248:249]
	v_add_f64_e32 v[28:29], v[204:205], v[28:29]
	v_fma_f64 v[204:205], v[50:51], s[10:11], -v[250:251]
	s_delay_alu instid0(VALU_DEP_2) | instskip(NEXT) | instid1(VALU_DEP_2)
	v_add_f64_e32 v[28:29], v[62:63], v[28:29]
	v_add_f64_e32 v[24:25], v[204:205], v[24:25]
	v_fma_f64 v[204:205], v[14:15], s[2:3], -v[106:107]
	s_delay_alu instid0(VALU_DEP_3) | instskip(NEXT) | instid1(VALU_DEP_2)
	v_add_f64_e32 v[28:29], v[66:67], v[28:29]
	v_add_f64_e32 v[24:25], v[204:205], v[24:25]
	v_fma_f64 v[204:205], v[98:99], s[20:21], -v[102:103]
	s_delay_alu instid0(VALU_DEP_3) | instskip(SKIP_1) | instid1(VALU_DEP_3)
	v_add_f64_e32 v[28:29], v[70:71], v[28:29]
	v_mul_f64_e32 v[70:71], s[38:39], v[8:9]
	v_add_f64_e32 v[24:25], v[204:205], v[24:25]
	s_delay_alu instid0(VALU_DEP_2) | instskip(NEXT) | instid1(VALU_DEP_1)
	v_fma_f64 v[204:205], v[116:117], s[28:29], -v[70:71]
	v_add_f64_e32 v[206:207], v[204:205], v[24:25]
	v_fma_f64 v[204:205], v[64:65], s[28:29], v[46:47]
	v_dual_mov_b32 v22, v170 :: v_dual_mov_b32 v23, v171
	v_dual_mov_b32 v24, v172 :: v_dual_mov_b32 v25, v173
	;; [unrolled: 1-line block ×6, first 2 shown]
	v_fma_f64 v[74:75], v[96:97], s[22:23], -v[72:73]
	v_mul_f64_e32 v[76:77], s[50:51], v[54:55]
	v_add_f64_e32 v[204:205], v[204:205], v[28:29]
	v_fma_f64 v[28:29], v[38:39], s[30:31], -v[30:31]
	s_delay_alu instid0(VALU_DEP_3) | instskip(NEXT) | instid1(VALU_DEP_2)
	v_fma_f64 v[78:79], v[40:41], s[2:3], -v[76:77]
	v_add_f64_e32 v[28:29], v[28:29], v[208:209]
	v_fma_f64 v[208:209], v[34:35], s[30:31], v[214:215]
	s_delay_alu instid0(VALU_DEP_2) | instskip(SKIP_1) | instid1(VALU_DEP_3)
	v_add_f64_e32 v[28:29], v[74:75], v[28:29]
	v_mul_f64_e32 v[74:75], s[44:45], v[174:175]
	v_add_f64_e32 v[208:209], v[208:209], v[210:211]
	s_delay_alu instid0(VALU_DEP_3) | instskip(NEXT) | instid1(VALU_DEP_3)
	v_add_f64_e32 v[28:29], v[78:79], v[28:29]
	v_fma_f64 v[210:211], v[36:37], s[22:23], v[74:75]
	v_mul_f64_e32 v[78:79], s[50:51], v[42:43]
	s_delay_alu instid0(VALU_DEP_3) | instskip(NEXT) | instid1(VALU_DEP_3)
	v_add_f64_e32 v[28:29], v[82:83], v[28:29]
	v_add_f64_e32 v[208:209], v[210:211], v[208:209]
	s_delay_alu instid0(VALU_DEP_3)
	v_fma_f64 v[210:211], v[48:49], s[2:3], v[78:79]
	v_mul_f64_e32 v[82:83], s[24:25], v[52:53]
	v_mul_f64_e32 v[52:53], s[52:53], v[52:53]
	v_add_f64_e32 v[28:29], v[86:87], v[28:29]
	v_mul_f64_e32 v[86:87], s[38:39], v[0:1]
	v_add_f64_e32 v[208:209], v[210:211], v[208:209]
	v_fma_f64 v[210:211], v[188:189], s[18:19], v[82:83]
	s_delay_alu instid0(VALU_DEP_4) | instskip(SKIP_1) | instid1(VALU_DEP_3)
	v_add_f64_e32 v[28:29], v[90:91], v[28:29]
	v_mul_f64_e32 v[90:91], s[56:57], v[10:11]
	v_add_f64_e32 v[208:209], v[210:211], v[208:209]
	v_fma_f64 v[210:211], v[194:195], s[28:29], v[86:87]
	s_delay_alu instid0(VALU_DEP_1) | instskip(NEXT) | instid1(VALU_DEP_4)
	v_add_f64_e32 v[208:209], v[210:211], v[208:209]
	v_fma_f64 v[210:211], v[68:69], s[26:27], v[90:91]
	s_delay_alu instid0(VALU_DEP_1) | instskip(SKIP_2) | instid1(VALU_DEP_1)
	v_add_f64_e32 v[208:209], v[210:211], v[208:209]
	v_add_f64_e32 v[210:211], v[94:95], v[28:29]
	v_mul_f64_e32 v[28:29], s[54:55], v[6:7]
	v_fma_f64 v[94:95], v[64:65], s[10:11], v[28:29]
	v_fma_f64 v[28:29], v[64:65], s[10:11], -v[28:29]
	s_delay_alu instid0(VALU_DEP_2) | instskip(SKIP_2) | instid1(VALU_DEP_2)
	v_add_f64_e32 v[208:209], v[94:95], v[208:209]
	v_mul_f64_e32 v[94:95], s[40:41], v[32:33]
	v_mul_f64_e32 v[32:33], s[44:45], v[32:33]
	v_fma_f64 v[224:225], v[38:39], s[28:29], -v[94:95]
	s_delay_alu instid0(VALU_DEP_1) | instskip(SKIP_2) | instid1(VALU_DEP_2)
	v_add_f64_e32 v[224:225], v[224:225], v[230:231]
	v_mul_f64_e32 v[230:231], s[40:41], v[168:169]
	v_mul_f64_e32 v[168:169], s[44:45], v[168:169]
	v_fma_f64 v[212:213], v[34:35], s[28:29], v[230:231]
	s_delay_alu instid0(VALU_DEP_2) | instskip(NEXT) | instid1(VALU_DEP_2)
	v_fma_f64 v[96:97], v[34:35], s[22:23], v[168:169]
	v_add_f64_e32 v[212:213], v[212:213], v[232:233]
	v_mul_f64_e32 v[232:233], s[54:55], v[44:45]
	v_mul_f64_e32 v[44:45], s[14:15], v[44:45]
	s_delay_alu instid0(VALU_DEP_2) | instskip(NEXT) | instid1(VALU_DEP_1)
	v_fma_f64 v[222:223], v[190:191], s[10:11], -v[232:233]
	v_add_f64_e32 v[222:223], v[222:223], v[224:225]
	v_mul_f64_e32 v[224:225], s[54:55], v[174:175]
	s_delay_alu instid0(VALU_DEP_1) | instskip(NEXT) | instid1(VALU_DEP_1)
	v_fma_f64 v[234:235], v[36:37], s[10:11], v[224:225]
	v_add_f64_e32 v[212:213], v[234:235], v[212:213]
	v_mul_f64_e32 v[234:235], s[24:25], v[54:55]
	v_mul_f64_e32 v[54:55], s[38:39], v[54:55]
	s_delay_alu instid0(VALU_DEP_2) | instskip(NEXT) | instid1(VALU_DEP_1)
	v_fma_f64 v[220:221], v[40:41], s[18:19], -v[234:235]
	v_add_f64_e32 v[220:221], v[220:221], v[222:223]
	v_mul_f64_e32 v[222:223], s[24:25], v[42:43]
	v_mul_f64_e32 v[42:43], s[38:39], v[42:43]
	s_delay_alu instid0(VALU_DEP_2) | instskip(NEXT) | instid1(VALU_DEP_1)
	v_fma_f64 v[228:229], v[48:49], s[18:19], v[222:223]
	v_add_f64_e32 v[212:213], v[228:229], v[212:213]
	v_fma_f64 v[228:229], v[50:51], s[30:31], -v[238:239]
	s_delay_alu instid0(VALU_DEP_1) | instskip(SKIP_1) | instid1(VALU_DEP_1)
	v_add_f64_e32 v[220:221], v[228:229], v[220:221]
	v_fma_f64 v[228:229], v[188:189], s[30:31], v[240:241]
	v_add_f64_e32 v[212:213], v[228:229], v[212:213]
	v_mul_f64_e32 v[228:229], s[52:53], v[4:5]
	v_mul_f64_e32 v[4:5], s[16:17], v[4:5]
	s_delay_alu instid0(VALU_DEP_2) | instskip(NEXT) | instid1(VALU_DEP_1)
	v_fma_f64 v[218:219], v[14:15], s[20:21], -v[228:229]
	v_add_f64_e32 v[218:219], v[218:219], v[220:221]
	v_mul_f64_e32 v[220:221], s[52:53], v[0:1]
	s_delay_alu instid0(VALU_DEP_1) | instskip(NEXT) | instid1(VALU_DEP_1)
	v_fma_f64 v[58:59], v[194:195], s[20:21], v[220:221]
	v_add_f64_e32 v[58:59], v[58:59], v[212:213]
	v_mul_f64_e32 v[212:213], s[14:15], v[12:13]
	s_delay_alu instid0(VALU_DEP_1) | instskip(NEXT) | instid1(VALU_DEP_1)
	v_fma_f64 v[12:13], v[98:99], s[2:3], -v[212:213]
	v_add_f64_e32 v[12:13], v[12:13], v[218:219]
	v_mul_f64_e32 v[218:219], s[14:15], v[10:11]
	s_delay_alu instid0(VALU_DEP_1) | instskip(NEXT) | instid1(VALU_DEP_1)
	v_fma_f64 v[10:11], v[68:69], s[2:3], v[218:219]
	v_add_f64_e32 v[10:11], v[10:11], v[58:59]
	v_mul_f64_e32 v[58:59], s[36:37], v[8:9]
	v_mul_f64_e32 v[8:9], s[42:43], v[8:9]
	s_delay_alu instid0(VALU_DEP_2) | instskip(NEXT) | instid1(VALU_DEP_1)
	v_fma_f64 v[226:227], v[116:117], s[26:27], -v[58:59]
	v_add_f64_e32 v[62:63], v[226:227], v[12:13]
	v_mul_f64_e32 v[226:227], s[36:37], v[6:7]
	scratch_load_b64 v[12:13], off, off offset:700 th:TH_LOAD_LU ; 8-byte Folded Reload
	v_mul_f64_e32 v[6:7], s[42:43], v[6:7]
	v_fma_f64 v[56:57], v[64:65], s[26:27], v[226:227]
	s_delay_alu instid0(VALU_DEP_1) | instskip(SKIP_4) | instid1(VALU_DEP_1)
	v_add_f64_e32 v[60:61], v[56:57], v[10:11]
	scratch_load_b64 v[10:11], off, off offset:732 th:TH_LOAD_LU ; 8-byte Folded Reload
	v_fma_f64 v[56:57], v[38:39], s[22:23], -v[32:33]
	v_fma_f64 v[32:33], v[38:39], s[22:23], v[32:33]
	s_wait_loadcnt 0x1
	v_add_f64_e32 v[32:33], v[32:33], v[12:13]
	scratch_load_b64 v[12:13], off, off offset:692 th:TH_LOAD_LU ; 8-byte Folded Reload
	v_mov_b32_e32 v133, v129
	s_wait_loadcnt 0x1
	v_add_f64_e32 v[56:57], v[56:57], v[10:11]
	scratch_load_b64 v[10:11], off, off offset:724 th:TH_LOAD_LU ; 8-byte Folded Reload
	s_wait_loadcnt 0x0
	v_add_f64_e32 v[96:97], v[96:97], v[10:11]
	v_dual_mov_b32 v10, v98 :: v_dual_mov_b32 v11, v99
	v_fma_f64 v[98:99], v[190:191], s[2:3], -v[44:45]
	v_fma_f64 v[44:45], v[190:191], s[2:3], v[44:45]
	v_dual_mov_b32 v128, v132 :: v_dual_mov_b32 v129, v133
	v_dual_mov_b32 v131, v135 :: v_dual_mov_b32 v130, v134
	v_mov_b32_e32 v132, v136
	v_dual_mov_b32 v134, v138 :: v_dual_mov_b32 v133, v137
	v_dual_mov_b32 v135, v139 :: v_dual_mov_b32 v136, v140
	;; [unrolled: 1-line block ×7, first 2 shown]
	v_mov_b32_e32 v163, v187
	v_add_f64_e32 v[56:57], v[98:99], v[56:57]
	v_mul_f64_e32 v[98:99], s[14:15], v[174:175]
	v_add_f64_e32 v[32:33], v[44:45], v[32:33]
	s_delay_alu instid0(VALU_DEP_2) | instskip(SKIP_1) | instid1(VALU_DEP_2)
	v_fma_f64 v[174:175], v[36:37], s[2:3], v[98:99]
	v_fma_f64 v[44:45], v[36:37], s[2:3], -v[98:99]
	v_add_f64_e32 v[96:97], v[174:175], v[96:97]
	v_fma_f64 v[174:175], v[40:41], s[28:29], -v[54:55]
	v_fma_f64 v[54:55], v[40:41], s[28:29], v[54:55]
	s_delay_alu instid0(VALU_DEP_2) | instskip(SKIP_2) | instid1(VALU_DEP_4)
	v_add_f64_e32 v[56:57], v[174:175], v[56:57]
	v_fma_f64 v[174:175], v[48:49], s[28:29], v[42:43]
	v_fma_f64 v[42:43], v[48:49], s[28:29], -v[42:43]
	v_add_f64_e32 v[32:33], v[54:55], v[32:33]
	s_delay_alu instid0(VALU_DEP_3) | instskip(SKIP_1) | instid1(VALU_DEP_1)
	v_add_f64_e32 v[96:97], v[174:175], v[96:97]
	v_mul_f64_e32 v[174:175], s[52:53], v[2:3]
	v_fma_f64 v[2:3], v[50:51], s[20:21], -v[174:175]
	s_delay_alu instid0(VALU_DEP_1) | instskip(SKIP_1) | instid1(VALU_DEP_1)
	v_add_f64_e32 v[2:3], v[2:3], v[56:57]
	v_fma_f64 v[56:57], v[188:189], s[20:21], v[52:53]
	v_add_f64_e32 v[56:57], v[56:57], v[96:97]
	v_fma_f64 v[96:97], v[14:15], s[10:11], -v[4:5]
	v_fma_f64 v[4:5], v[14:15], s[10:11], v[4:5]
	s_delay_alu instid0(VALU_DEP_2) | instskip(SKIP_1) | instid1(VALU_DEP_1)
	v_add_f64_e32 v[2:3], v[96:97], v[2:3]
	v_mul_f64_e32 v[96:97], s[16:17], v[0:1]
	v_fma_f64 v[0:1], v[194:195], s[10:11], v[96:97]
	s_delay_alu instid0(VALU_DEP_1) | instskip(SKIP_1) | instid1(VALU_DEP_1)
	v_add_f64_e32 v[0:1], v[0:1], v[56:57]
	v_fma_f64 v[56:57], v[10:11], s[30:31], -v[216:217]
	v_add_f64_e32 v[2:3], v[56:57], v[2:3]
	v_fma_f64 v[56:57], v[68:69], s[30:31], v[236:237]
	s_delay_alu instid0(VALU_DEP_1) | instskip(SKIP_2) | instid1(VALU_DEP_2)
	v_add_f64_e32 v[0:1], v[56:57], v[0:1]
	v_fma_f64 v[56:57], v[116:117], s[18:19], -v[8:9]
	v_fma_f64 v[8:9], v[116:117], s[18:19], v[8:9]
	v_add_f64_e32 v[2:3], v[56:57], v[2:3]
	v_fma_f64 v[56:57], v[64:65], s[18:19], v[6:7]
	s_delay_alu instid0(VALU_DEP_1) | instskip(SKIP_1) | instid1(VALU_DEP_1)
	v_add_f64_e32 v[0:1], v[56:57], v[0:1]
	v_fma_f64 v[56:57], v[34:35], s[22:23], -v[168:169]
	v_add_f64_e32 v[56:57], v[56:57], v[12:13]
	scratch_load_b64 v[12:13], off, off offset:684 th:TH_LOAD_LU ; 8-byte Folded Reload
	v_add_f64_e32 v[44:45], v[44:45], v[56:57]
	s_delay_alu instid0(VALU_DEP_1) | instskip(SKIP_1) | instid1(VALU_DEP_1)
	v_add_f64_e32 v[42:43], v[42:43], v[44:45]
	v_fma_f64 v[44:45], v[50:51], s[20:21], v[174:175]
	v_add_f64_e32 v[32:33], v[44:45], v[32:33]
	v_fma_f64 v[44:45], v[188:189], s[20:21], -v[52:53]
	v_fma_f64 v[52:53], v[64:65], s[26:27], -v[226:227]
	s_delay_alu instid0(VALU_DEP_3) | instskip(NEXT) | instid1(VALU_DEP_3)
	v_add_f64_e32 v[4:5], v[4:5], v[32:33]
	v_add_f64_e32 v[42:43], v[44:45], v[42:43]
	v_fma_f64 v[32:33], v[194:195], s[10:11], -v[96:97]
	s_delay_alu instid0(VALU_DEP_1) | instskip(SKIP_1) | instid1(VALU_DEP_1)
	v_add_f64_e32 v[32:33], v[32:33], v[42:43]
	v_fma_f64 v[42:43], v[10:11], s[30:31], v[216:217]
	v_add_f64_e32 v[4:5], v[42:43], v[4:5]
	v_fma_f64 v[42:43], v[68:69], s[30:31], -v[236:237]
	s_delay_alu instid0(VALU_DEP_1) | instskip(SKIP_1) | instid1(VALU_DEP_4)
	v_add_f64_e32 v[32:33], v[42:43], v[32:33]
	v_fma_f64 v[42:43], v[64:65], s[18:19], -v[6:7]
	v_add_f64_e32 v[6:7], v[8:9], v[4:5]
	v_fma_f64 v[8:9], v[38:39], s[28:29], v[94:95]
	s_delay_alu instid0(VALU_DEP_3) | instskip(SKIP_3) | instid1(VALU_DEP_4)
	v_add_f64_e32 v[4:5], v[42:43], v[32:33]
	v_fma_f64 v[32:33], v[34:35], s[28:29], -v[230:231]
	v_fma_f64 v[42:43], v[190:191], s[10:11], v[232:233]
	s_wait_loadcnt 0x0
	v_add_f64_e32 v[8:9], v[8:9], v[12:13]
	scratch_load_b64 v[12:13], off, off offset:676 th:TH_LOAD_LU ; 8-byte Folded Reload
	v_add_f64_e32 v[8:9], v[42:43], v[8:9]
	v_fma_f64 v[42:43], v[36:37], s[10:11], -v[224:225]
	s_wait_loadcnt 0x0
	v_add_f64_e32 v[32:33], v[32:33], v[12:13]
	scratch_load_b64 v[12:13], off, off offset:652 th:TH_LOAD_LU ; 8-byte Folded Reload
	v_add_f64_e32 v[32:33], v[42:43], v[32:33]
	v_fma_f64 v[42:43], v[40:41], s[18:19], v[234:235]
	s_delay_alu instid0(VALU_DEP_1) | instskip(SKIP_1) | instid1(VALU_DEP_1)
	v_add_f64_e32 v[8:9], v[42:43], v[8:9]
	v_fma_f64 v[42:43], v[48:49], s[18:19], -v[222:223]
	v_add_f64_e32 v[32:33], v[42:43], v[32:33]
	v_fma_f64 v[42:43], v[50:51], s[30:31], v[238:239]
	s_delay_alu instid0(VALU_DEP_1) | instskip(SKIP_1) | instid1(VALU_DEP_1)
	v_add_f64_e32 v[8:9], v[42:43], v[8:9]
	v_fma_f64 v[42:43], v[188:189], s[30:31], -v[240:241]
	;; [unrolled: 5-line block ×4, first 2 shown]
	v_add_f64_e32 v[32:33], v[42:43], v[32:33]
	v_fma_f64 v[42:43], v[116:117], s[26:27], v[58:59]
	s_delay_alu instid0(VALU_DEP_1) | instskip(SKIP_1) | instid1(VALU_DEP_4)
	v_add_f64_e32 v[44:45], v[42:43], v[8:9]
	v_fma_f64 v[8:9], v[38:39], s[30:31], v[30:31]
	v_add_f64_e32 v[42:43], v[52:53], v[32:33]
	v_fma_f64 v[30:31], v[34:35], s[30:31], -v[214:215]
	v_fma_f64 v[32:33], v[190:191], s[22:23], v[72:73]
	s_wait_loadcnt 0x0
	s_delay_alu instid0(VALU_DEP_4)
	v_add_f64_e32 v[8:9], v[8:9], v[12:13]
	scratch_load_b64 v[12:13], off, off offset:644 th:TH_LOAD_LU ; 8-byte Folded Reload
	v_add_f64_e32 v[8:9], v[32:33], v[8:9]
	v_fma_f64 v[32:33], v[36:37], s[22:23], -v[74:75]
	s_wait_loadcnt 0x0
	v_add_f64_e32 v[30:31], v[30:31], v[12:13]
	s_delay_alu instid0(VALU_DEP_1)
	v_add_f64_e32 v[30:31], v[32:33], v[30:31]
	v_fma_f64 v[32:33], v[40:41], s[2:3], v[76:77]
	v_dual_mov_b32 v74, v148 :: v_dual_mov_b32 v75, v149
	v_dual_mov_b32 v76, v150 :: v_dual_mov_b32 v77, v151
	;; [unrolled: 1-line block ×6, first 2 shown]
	v_fma_f64 v[22:23], v[34:35], s[26:27], -v[253:254]
	v_fma_f64 v[24:25], v[64:65], s[28:29], -v[46:47]
	v_add_f64_e32 v[8:9], v[32:33], v[8:9]
	v_fma_f64 v[32:33], v[48:49], s[2:3], -v[78:79]
	s_delay_alu instid0(VALU_DEP_1) | instskip(SKIP_3) | instid1(VALU_DEP_3)
	v_add_f64_e32 v[30:31], v[32:33], v[30:31]
	v_fma_f64 v[32:33], v[50:51], s[18:19], v[80:81]
	v_dual_mov_b32 v81, v21 :: v_dual_mov_b32 v78, v18
	v_dual_mov_b32 v79, v19 :: v_dual_mov_b32 v80, v20
	v_add_f64_e32 v[8:9], v[32:33], v[8:9]
	v_fma_f64 v[32:33], v[188:189], s[18:19], -v[82:83]
	s_delay_alu instid0(VALU_DEP_1)
	v_add_f64_e32 v[30:31], v[32:33], v[30:31]
	v_fma_f64 v[32:33], v[14:15], s[28:29], v[84:85]
	v_dual_mov_b32 v82, v152 :: v_dual_mov_b32 v83, v153
	v_dual_mov_b32 v84, v154 :: v_dual_mov_b32 v85, v155
	v_dual_mov_b32 v152, v242 :: v_dual_mov_b32 v155, v245
	v_dual_mov_b32 v153, v243 :: v_dual_mov_b32 v154, v244
	v_add_f64_e32 v[8:9], v[32:33], v[8:9]
	v_fma_f64 v[32:33], v[194:195], s[28:29], -v[86:87]
	s_delay_alu instid0(VALU_DEP_1)
	v_add_f64_e32 v[30:31], v[32:33], v[30:31]
	v_fma_f64 v[32:33], v[10:11], s[26:27], v[88:89]
	v_dual_mov_b32 v86, v156 :: v_dual_mov_b32 v87, v157
	v_dual_mov_b32 v88, v158 :: v_dual_mov_b32 v89, v159
	;; [unrolled: 1-line block ×6, first 2 shown]
	v_add_f64_e32 v[8:9], v[32:33], v[8:9]
	v_fma_f64 v[32:33], v[68:69], s[26:27], -v[90:91]
	v_mov_b32_e32 v91, v255
	s_clause 0x3
	scratch_load_b32 v90, off, off offset:460
	scratch_load_b32 v255, off, off offset:452
	scratch_load_b64 v[12:13], off, off offset:620 th:TH_LOAD_LU
	scratch_load_b128 v[180:183], off, off offset:420
	v_add_f64_e32 v[30:31], v[32:33], v[30:31]
	v_fma_f64 v[32:33], v[116:117], s[10:11], v[92:93]
	v_dual_mov_b32 v92, v176 :: v_dual_mov_b32 v93, v177
	v_dual_mov_b32 v94, v178 :: v_dual_mov_b32 v95, v179
	scratch_load_b128 v[176:179], off, off offset:436 ; 16-byte Folded Reload
	v_add_f64_e32 v[52:53], v[28:29], v[30:31]
	v_add_f64_e32 v[54:55], v[32:33], v[8:9]
	v_fma_f64 v[8:9], v[38:39], s[26:27], v[118:119]
	v_fma_f64 v[28:29], v[36:37], s[30:31], -v[192:193]
	v_fma_f64 v[30:31], v[40:41], s[22:23], v[246:247]
	s_wait_loadcnt 0x2
	s_delay_alu instid0(VALU_DEP_3) | instskip(SKIP_3) | instid1(VALU_DEP_2)
	v_add_f64_e32 v[8:9], v[8:9], v[12:13]
	scratch_load_b64 v[12:13], off, off offset:596 th:TH_LOAD_LU ; 8-byte Folded Reload
	v_add_f64_e32 v[8:9], v[26:27], v[8:9]
	v_fma_f64 v[26:27], v[48:49], s[22:23], -v[248:249]
	v_add_f64_e32 v[8:9], v[30:31], v[8:9]
	v_fma_f64 v[30:31], v[188:189], s[10:11], -v[100:101]
	s_wait_loadcnt 0x0
	v_add_f64_e32 v[22:23], v[22:23], v[12:13]
	s_delay_alu instid0(VALU_DEP_1) | instskip(SKIP_1) | instid1(VALU_DEP_2)
	v_add_f64_e32 v[22:23], v[28:29], v[22:23]
	v_fma_f64 v[28:29], v[50:51], s[10:11], v[250:251]
	v_add_f64_e32 v[22:23], v[26:27], v[22:23]
	v_fma_f64 v[26:27], v[14:15], s[2:3], v[106:107]
	s_delay_alu instid0(VALU_DEP_3) | instskip(SKIP_1) | instid1(VALU_DEP_4)
	v_add_f64_e32 v[8:9], v[28:29], v[8:9]
	v_fma_f64 v[28:29], v[194:195], s[2:3], -v[104:105]
	v_add_f64_e32 v[22:23], v[30:31], v[22:23]
	v_fma_f64 v[30:31], v[10:11], s[20:21], v[102:103]
	s_delay_alu instid0(VALU_DEP_4) | instskip(SKIP_1) | instid1(VALU_DEP_4)
	v_add_f64_e32 v[8:9], v[26:27], v[8:9]
	v_fma_f64 v[26:27], v[68:69], s[20:21], -v[16:17]
	v_add_f64_e32 v[22:23], v[28:29], v[22:23]
	v_fma_f64 v[28:29], v[116:117], s[28:29], v[70:71]
	s_delay_alu instid0(VALU_DEP_4)
	v_add_f64_e32 v[8:9], v[30:31], v[8:9]
	v_dual_mov_b32 v70, v144 :: v_dual_mov_b32 v71, v145
	v_dual_mov_b32 v72, v146 :: v_dual_mov_b32 v73, v147
	v_mov_b32_e32 v144, v164
	v_dual_mov_b32 v146, v166 :: v_dual_mov_b32 v145, v165
	v_mov_b32_e32 v147, v167
	v_add_f64_e32 v[22:23], v[26:27], v[22:23]
	v_add_f64_e32 v[34:35], v[28:29], v[8:9]
	s_clause 0x1
	scratch_load_b32 v8, off, off offset:8
	scratch_load_b128 v[9:12], off, off offset:604 th:TH_LOAD_LU
	v_add_f64_e32 v[32:33], v[24:25], v[22:23]
	s_wait_loadcnt 0x1
	v_mul_lo_u16 v8, v8, 17
	v_dual_mov_b32 v167, v111 :: v_dual_mov_b32 v166, v110
	v_mov_b32_e32 v164, v108
	s_delay_alu instid0(VALU_DEP_3) | instskip(NEXT) | instid1(VALU_DEP_1)
	v_dual_mov_b32 v165, v109 :: v_dual_and_b32 v8, 0xffff, v8
	v_lshlrev_b32_e32 v8, 4, v8
	s_wait_loadcnt 0x0
	ds_store_b128 v8, v[9:12]
	ds_store_b128 v8, v[196:199] offset:16
	ds_store_b128 v8, v[200:203] offset:32
	;; [unrolled: 1-line block ×6, first 2 shown]
	scratch_load_b128 v[0:3], off, off offset:708 th:TH_LOAD_LU ; 16-byte Folded Reload
	s_wait_loadcnt 0x0
	ds_store_b128 v8, v[0:3] offset:112
	scratch_load_b128 v[0:3], off, off offset:628 th:TH_LOAD_LU ; 16-byte Folded Reload
	s_wait_loadcnt 0x0
	ds_store_b128 v8, v[0:3] offset:128
	;; [unrolled: 3-line block ×4, first 2 shown]
	ds_store_b128 v8, v[4:7] offset:176
	ds_store_b128 v8, v[42:45] offset:192
	ds_store_b128 v8, v[52:55] offset:208
	ds_store_b128 v8, v[32:35] offset:224
	scratch_load_b128 v[0:3], off, off offset:12 ; 16-byte Folded Reload
	s_wait_loadcnt 0x0
	ds_store_b128 v8, v[0:3] offset:240
	ds_store_b128 v8, v[176:179] offset:256
.LBB0_17:
	s_wait_alu 0xfffe
	s_or_b32 exec_lo, exec_lo, s1
	global_wb scope:SCOPE_SE
	s_wait_storecnt_dscnt 0x0
	s_barrier_signal -1
	s_barrier_wait -1
	global_inv scope:SCOPE_SE
	ds_load_b128 v[0:3], v252 offset:9520
	ds_load_b128 v[4:7], v252 offset:7616
	scratch_load_b128 v[10:13], off, off offset:372 th:TH_LOAD_LU ; 16-byte Folded Reload
	s_mov_b32 s2, 0xe8584caa
	s_mov_b32 s3, 0xbfebb67a
	;; [unrolled: 1-line block ×3, first 2 shown]
	s_wait_alu 0xfffe
	s_mov_b32 s10, s2
	s_mov_b32 s14, 0x134454ff
	;; [unrolled: 1-line block ×4, first 2 shown]
	s_wait_alu 0xfffe
	s_mov_b32 s16, s14
	s_mov_b32 s18, 0x372fe950
	;; [unrolled: 1-line block ×3, first 2 shown]
	s_wait_loadcnt_dscnt 0x1
	v_mul_f64_e32 v[8:9], v[12:13], v[2:3]
	s_delay_alu instid0(VALU_DEP_1) | instskip(SKIP_1) | instid1(VALU_DEP_1)
	v_fma_f64 v[16:17], v[10:11], v[0:1], v[8:9]
	v_mul_f64_e32 v[0:1], v[12:13], v[0:1]
	v_fma_f64 v[18:19], v[10:11], v[2:3], -v[0:1]
	ds_load_b128 v[0:3], v252 offset:19040
	ds_load_b128 v[8:11], v252 offset:20944
	scratch_load_b128 v[22:25], off, off offset:324 th:TH_LOAD_LU ; 16-byte Folded Reload
	s_wait_loadcnt_dscnt 0x1
	v_mul_f64_e32 v[12:13], v[24:25], v[2:3]
	s_delay_alu instid0(VALU_DEP_1) | instskip(SKIP_1) | instid1(VALU_DEP_1)
	v_fma_f64 v[20:21], v[22:23], v[0:1], v[12:13]
	v_mul_f64_e32 v[0:1], v[24:25], v[0:1]
	v_fma_f64 v[22:23], v[22:23], v[2:3], -v[0:1]
	ds_load_b128 v[0:3], v252 offset:11424
	ds_load_b128 v[12:15], v252 offset:13328
	scratch_load_b128 v[30:33], off, off offset:340 th:TH_LOAD_LU ; 16-byte Folded Reload
	s_wait_loadcnt_dscnt 0x1
	v_mul_f64_e32 v[24:25], v[32:33], v[2:3]
	s_delay_alu instid0(VALU_DEP_1) | instskip(SKIP_1) | instid1(VALU_DEP_1)
	v_fma_f64 v[28:29], v[30:31], v[0:1], v[24:25]
	v_mul_f64_e32 v[0:1], v[32:33], v[0:1]
	v_fma_f64 v[30:31], v[30:31], v[2:3], -v[0:1]
	v_mul_f64_e32 v[0:1], v[94:95], v[10:11]
	s_delay_alu instid0(VALU_DEP_1) | instskip(SKIP_1) | instid1(VALU_DEP_1)
	v_fma_f64 v[32:33], v[92:93], v[8:9], v[0:1]
	v_mul_f64_e32 v[0:1], v[94:95], v[8:9]
	v_fma_f64 v[34:35], v[92:93], v[10:11], -v[0:1]
	scratch_load_b128 v[8:11], off, off offset:28 th:TH_LOAD_LU ; 16-byte Folded Reload
	s_wait_loadcnt_dscnt 0x0
	v_mul_f64_e32 v[0:1], v[10:11], v[14:15]
	s_delay_alu instid0(VALU_DEP_1) | instskip(SKIP_1) | instid1(VALU_DEP_1)
	v_fma_f64 v[36:37], v[8:9], v[12:13], v[0:1]
	v_mul_f64_e32 v[0:1], v[10:11], v[12:13]
	v_fma_f64 v[38:39], v[8:9], v[14:15], -v[0:1]
	ds_load_b128 v[0:3], v252 offset:22848
	ds_load_b128 v[8:11], v252 offset:24752
	scratch_load_b128 v[24:27], off, off offset:388 th:TH_LOAD_LU ; 16-byte Folded Reload
	s_wait_loadcnt_dscnt 0x1
	v_mul_f64_e32 v[12:13], v[26:27], v[2:3]
	s_delay_alu instid0(VALU_DEP_1) | instskip(SKIP_1) | instid1(VALU_DEP_1)
	v_fma_f64 v[40:41], v[24:25], v[0:1], v[12:13]
	v_mul_f64_e32 v[0:1], v[26:27], v[0:1]
	v_fma_f64 v[42:43], v[24:25], v[2:3], -v[0:1]
	ds_load_b128 v[0:3], v252 offset:15232
	ds_load_b128 v[12:15], v252 offset:17136
	scratch_load_b128 v[46:49], off, off offset:168 th:TH_LOAD_LU ; 16-byte Folded Reload
	s_wait_loadcnt_dscnt 0x1
	v_mul_f64_e32 v[24:25], v[48:49], v[2:3]
	s_delay_alu instid0(VALU_DEP_1) | instskip(SKIP_2) | instid1(VALU_DEP_1)
	v_fma_f64 v[44:45], v[46:47], v[0:1], v[24:25]
	scratch_load_b128 v[24:27], off, off offset:152 th:TH_LOAD_LU ; 16-byte Folded Reload
	v_mul_f64_e32 v[0:1], v[48:49], v[0:1]
	v_fma_f64 v[46:47], v[46:47], v[2:3], -v[0:1]
	s_wait_loadcnt 0x0
	v_mul_f64_e32 v[0:1], v[26:27], v[10:11]
	s_delay_alu instid0(VALU_DEP_1) | instskip(SKIP_1) | instid1(VALU_DEP_1)
	v_fma_f64 v[48:49], v[24:25], v[8:9], v[0:1]
	v_mul_f64_e32 v[0:1], v[26:27], v[8:9]
	v_fma_f64 v[50:51], v[24:25], v[10:11], -v[0:1]
	scratch_load_b128 v[8:11], off, off offset:200 th:TH_LOAD_LU ; 16-byte Folded Reload
	s_wait_loadcnt_dscnt 0x0
	v_mul_f64_e32 v[0:1], v[10:11], v[14:15]
	s_delay_alu instid0(VALU_DEP_1)
	v_fma_f64 v[52:53], v[8:9], v[12:13], v[0:1]
	v_mul_f64_e32 v[0:1], v[10:11], v[12:13]
	scratch_load_b128 v[10:13], off, off offset:184 th:TH_LOAD_LU ; 16-byte Folded Reload
	v_fma_f64 v[54:55], v[8:9], v[14:15], -v[0:1]
	ds_load_b128 v[0:3], v252 offset:26656
	s_wait_loadcnt_dscnt 0x0
	v_mul_f64_e32 v[8:9], v[12:13], v[2:3]
	s_delay_alu instid0(VALU_DEP_1) | instskip(SKIP_2) | instid1(VALU_DEP_2)
	v_fma_f64 v[56:57], v[10:11], v[0:1], v[8:9]
	v_mul_f64_e32 v[0:1], v[12:13], v[0:1]
	v_add_f64_e32 v[12:13], v[16:17], v[20:21]
	v_fma_f64 v[58:59], v[10:11], v[2:3], -v[0:1]
	ds_load_b128 v[0:3], v252
	ds_load_b128 v[8:11], v252 offset:1904
	s_wait_dscnt 0x1
	v_fma_f64 v[14:15], v[12:13], -0.5, v[0:1]
	v_add_f64_e32 v[12:13], v[18:19], v[22:23]
	v_add_f64_e32 v[0:1], v[0:1], v[16:17]
	s_delay_alu instid0(VALU_DEP_2) | instskip(SKIP_2) | instid1(VALU_DEP_4)
	v_fma_f64 v[24:25], v[12:13], -0.5, v[2:3]
	v_add_f64_e32 v[2:3], v[2:3], v[18:19]
	v_add_f64_e64 v[18:19], v[18:19], -v[22:23]
	v_add_f64_e32 v[0:1], v[0:1], v[20:21]
	v_add_f64_e64 v[20:21], v[16:17], -v[20:21]
	s_delay_alu instid0(VALU_DEP_4) | instskip(NEXT) | instid1(VALU_DEP_4)
	v_add_f64_e32 v[2:3], v[2:3], v[22:23]
	v_fma_f64 v[12:13], v[18:19], s[2:3], v[14:15]
	v_fma_f64 v[16:17], v[18:19], s[10:11], v[14:15]
	s_delay_alu instid0(VALU_DEP_4)
	v_fma_f64 v[14:15], v[20:21], s[10:11], v[24:25]
	v_fma_f64 v[18:19], v[20:21], s[2:3], v[24:25]
	ds_load_b128 v[20:23], v252 offset:3808
	ds_load_b128 v[24:27], v252 offset:5712
	global_wb scope:SCOPE_SE
	s_wait_dscnt 0x0
	s_barrier_signal -1
	s_barrier_wait -1
	global_inv scope:SCOPE_SE
	scratch_load_b32 v68, off, off offset:224 th:TH_LOAD_LU ; 4-byte Folded Reload
	s_wait_loadcnt 0x0
	ds_store_b128 v68, v[0:3]
	ds_store_b128 v68, v[12:15] offset:272
	ds_store_b128 v68, v[16:19] offset:544
	v_add_f64_e32 v[0:1], v[28:29], v[32:33]
	v_add_f64_e64 v[16:17], v[28:29], -v[32:33]
	s_delay_alu instid0(VALU_DEP_2) | instskip(SKIP_2) | instid1(VALU_DEP_2)
	v_fma_f64 v[12:13], v[0:1], -0.5, v[8:9]
	v_add_f64_e32 v[0:1], v[30:31], v[34:35]
	v_add_f64_e32 v[8:9], v[8:9], v[28:29]
	v_fma_f64 v[14:15], v[0:1], -0.5, v[10:11]
	v_add_f64_e32 v[0:1], v[10:11], v[30:31]
	v_add_f64_e64 v[10:11], v[30:31], -v[34:35]
	s_delay_alu instid0(VALU_DEP_2) | instskip(SKIP_1) | instid1(VALU_DEP_3)
	v_add_f64_e32 v[2:3], v[0:1], v[34:35]
	v_add_f64_e32 v[0:1], v[8:9], v[32:33]
	v_fma_f64 v[8:9], v[10:11], s[2:3], v[12:13]
	v_fma_f64 v[12:13], v[10:11], s[10:11], v[12:13]
	;; [unrolled: 1-line block ×4, first 2 shown]
	scratch_load_b32 v16, off, off offset:220 th:TH_LOAD_LU ; 4-byte Folded Reload
	s_wait_loadcnt 0x0
	ds_store_b128 v16, v[0:3]
	ds_store_b128 v16, v[8:11] offset:272
	ds_store_b128 v16, v[12:15] offset:544
	v_add_f64_e32 v[0:1], v[36:37], v[40:41]
	v_add_f64_e32 v[8:9], v[20:21], v[36:37]
	v_add_f64_e64 v[12:13], v[38:39], -v[42:43]
	v_add_f64_e64 v[16:17], v[36:37], -v[40:41]
	s_delay_alu instid0(VALU_DEP_4) | instskip(SKIP_1) | instid1(VALU_DEP_1)
	v_fma_f64 v[10:11], v[0:1], -0.5, v[20:21]
	v_add_f64_e32 v[0:1], v[38:39], v[42:43]
	v_fma_f64 v[14:15], v[0:1], -0.5, v[22:23]
	v_add_f64_e32 v[0:1], v[22:23], v[38:39]
	s_delay_alu instid0(VALU_DEP_1)
	v_add_f64_e32 v[2:3], v[0:1], v[42:43]
	v_add_f64_e32 v[0:1], v[8:9], v[40:41]
	v_fma_f64 v[8:9], v[12:13], s[2:3], v[10:11]
	v_fma_f64 v[12:13], v[12:13], s[10:11], v[10:11]
	v_fma_f64 v[10:11], v[16:17], s[10:11], v[14:15]
	v_fma_f64 v[14:15], v[16:17], s[2:3], v[14:15]
	scratch_load_b32 v16, off, off offset:216 th:TH_LOAD_LU ; 4-byte Folded Reload
	s_wait_loadcnt 0x0
	ds_store_b128 v16, v[0:3]
	ds_store_b128 v16, v[8:11] offset:272
	ds_store_b128 v16, v[12:15] offset:544
	v_add_f64_e32 v[0:1], v[44:45], v[48:49]
	v_add_f64_e32 v[8:9], v[24:25], v[44:45]
	v_add_f64_e64 v[12:13], v[46:47], -v[50:51]
	v_add_f64_e64 v[16:17], v[44:45], -v[48:49]
	s_delay_alu instid0(VALU_DEP_4) | instskip(SKIP_1) | instid1(VALU_DEP_1)
	v_fma_f64 v[10:11], v[0:1], -0.5, v[24:25]
	v_add_f64_e32 v[0:1], v[46:47], v[50:51]
	v_fma_f64 v[14:15], v[0:1], -0.5, v[26:27]
	v_add_f64_e32 v[0:1], v[26:27], v[46:47]
	s_delay_alu instid0(VALU_DEP_1)
	v_add_f64_e32 v[2:3], v[0:1], v[50:51]
	v_add_f64_e32 v[0:1], v[8:9], v[48:49]
	v_fma_f64 v[8:9], v[12:13], s[2:3], v[10:11]
	v_fma_f64 v[12:13], v[12:13], s[10:11], v[10:11]
	;; [unrolled: 1-line block ×4, first 2 shown]
	scratch_load_b32 v16, off, off offset:148 th:TH_LOAD_LU ; 4-byte Folded Reload
	s_wait_loadcnt 0x0
	ds_store_b128 v16, v[0:3]
	ds_store_b128 v16, v[8:11] offset:272
	ds_store_b128 v16, v[12:15] offset:544
	v_add_f64_e32 v[0:1], v[52:53], v[56:57]
	v_add_f64_e64 v[12:13], v[52:53], -v[56:57]
	s_delay_alu instid0(VALU_DEP_2) | instskip(SKIP_2) | instid1(VALU_DEP_2)
	v_fma_f64 v[8:9], v[0:1], -0.5, v[4:5]
	v_add_f64_e32 v[0:1], v[54:55], v[58:59]
	v_add_f64_e32 v[4:5], v[4:5], v[52:53]
	v_fma_f64 v[10:11], v[0:1], -0.5, v[6:7]
	v_add_f64_e32 v[0:1], v[6:7], v[54:55]
	v_add_f64_e64 v[6:7], v[54:55], -v[58:59]
	s_delay_alu instid0(VALU_DEP_2) | instskip(SKIP_1) | instid1(VALU_DEP_3)
	v_add_f64_e32 v[2:3], v[0:1], v[58:59]
	v_add_f64_e32 v[0:1], v[4:5], v[56:57]
	v_fma_f64 v[4:5], v[6:7], s[2:3], v[8:9]
	v_fma_f64 v[8:9], v[6:7], s[10:11], v[8:9]
	;; [unrolled: 1-line block ×4, first 2 shown]
	scratch_load_b32 v12, off, off offset:140 th:TH_LOAD_LU ; 4-byte Folded Reload
	s_mov_b32 s2, 0x4755a5e
	s_mov_b32 s3, 0xbfe2cf23
	;; [unrolled: 1-line block ×3, first 2 shown]
	s_wait_alu 0xfffe
	s_mov_b32 s10, s2
	s_wait_loadcnt 0x0
	ds_store_b128 v12, v[0:3]
	ds_store_b128 v12, v[4:7] offset:272
	ds_store_b128 v12, v[8:11] offset:544
	global_wb scope:SCOPE_SE
	s_wait_dscnt 0x0
	s_barrier_signal -1
	s_barrier_wait -1
	global_inv scope:SCOPE_SE
	ds_load_b128 v[4:7], v252 offset:5712
	ds_load_b128 v[0:3], v252 offset:3808
	scratch_load_b128 v[16:19], off, off offset:356 th:TH_LOAD_LU ; 16-byte Folded Reload
	ds_load_b128 v[8:11], v252 offset:11424
	s_wait_loadcnt_dscnt 0x2
	v_mul_f64_e32 v[12:13], v[18:19], v[6:7]
	v_mul_f64_e32 v[14:15], v[18:19], v[4:5]
	s_delay_alu instid0(VALU_DEP_2) | instskip(NEXT) | instid1(VALU_DEP_2)
	v_fma_f64 v[24:25], v[16:17], v[4:5], v[12:13]
	v_fma_f64 v[26:27], v[16:17], v[6:7], -v[14:15]
	ds_load_b128 v[4:7], v252 offset:13328
	s_wait_dscnt 0x1
	v_mul_f64_e32 v[12:13], v[114:115], v[10:11]
	v_mul_f64_e32 v[14:15], v[114:115], v[8:9]
	s_delay_alu instid0(VALU_DEP_2) | instskip(NEXT) | instid1(VALU_DEP_2)
	v_fma_f64 v[28:29], v[112:113], v[8:9], v[12:13]
	v_fma_f64 v[30:31], v[112:113], v[10:11], -v[14:15]
	ds_load_b128 v[8:11], v252 offset:22848
	ds_load_b128 v[12:15], v252 offset:24752
	s_wait_dscnt 0x1
	v_mul_f64_e32 v[16:17], v[76:77], v[10:11]
	s_delay_alu instid0(VALU_DEP_1) | instskip(SKIP_1) | instid1(VALU_DEP_2)
	v_fma_f64 v[32:33], v[74:75], v[8:9], v[16:17]
	v_mul_f64_e32 v[8:9], v[76:77], v[8:9]
	v_add_f64_e64 v[76:77], v[24:25], -v[32:33]
	s_delay_alu instid0(VALU_DEP_2) | instskip(SKIP_4) | instid1(VALU_DEP_1)
	v_fma_f64 v[34:35], v[74:75], v[10:11], -v[8:9]
	ds_load_b128 v[8:11], v252 offset:17136
	ds_load_b128 v[16:19], v252 offset:15232
	s_wait_dscnt 0x1
	v_mul_f64_e32 v[20:21], v[72:73], v[10:11]
	v_fma_f64 v[36:37], v[70:71], v[8:9], v[20:21]
	v_mul_f64_e32 v[8:9], v[72:73], v[8:9]
	v_add_f64_e64 v[72:73], v[26:27], -v[34:35]
	s_delay_alu instid0(VALU_DEP_2)
	v_fma_f64 v[38:39], v[70:71], v[10:11], -v[8:9]
	ds_load_b128 v[8:11], v252 offset:7616
	ds_load_b128 v[20:23], v252 offset:9520
	scratch_load_b128 v[42:45], off, off offset:44 th:TH_LOAD_LU ; 16-byte Folded Reload
	v_add_f64_e64 v[74:75], v[30:31], -v[38:39]
	s_wait_loadcnt_dscnt 0x1
	v_mul_f64_e32 v[40:41], v[44:45], v[10:11]
	s_delay_alu instid0(VALU_DEP_1) | instskip(SKIP_1) | instid1(VALU_DEP_1)
	v_fma_f64 v[40:41], v[42:43], v[8:9], v[40:41]
	v_mul_f64_e32 v[8:9], v[44:45], v[8:9]
	v_fma_f64 v[42:43], v[42:43], v[10:11], -v[8:9]
	v_mul_f64_e32 v[8:9], v[84:85], v[6:7]
	s_delay_alu instid0(VALU_DEP_1) | instskip(SKIP_1) | instid1(VALU_DEP_1)
	v_fma_f64 v[44:45], v[82:83], v[4:5], v[8:9]
	v_mul_f64_e32 v[4:5], v[84:85], v[4:5]
	v_fma_f64 v[46:47], v[82:83], v[6:7], -v[4:5]
	ds_load_b128 v[4:7], v252 offset:19040
	ds_load_b128 v[8:11], v252 offset:20944
	scratch_load_b128 v[50:53], off, off offset:60 th:TH_LOAD_LU ; 16-byte Folded Reload
	s_wait_loadcnt_dscnt 0x1
	v_mul_f64_e32 v[48:49], v[52:53], v[6:7]
	s_delay_alu instid0(VALU_DEP_1) | instskip(SKIP_1) | instid1(VALU_DEP_1)
	v_fma_f64 v[48:49], v[50:51], v[4:5], v[48:49]
	v_mul_f64_e32 v[4:5], v[52:53], v[4:5]
	v_fma_f64 v[50:51], v[50:51], v[6:7], -v[4:5]
	v_mul_f64_e32 v[4:5], v[88:89], v[14:15]
	s_delay_alu instid0(VALU_DEP_1) | instskip(SKIP_1) | instid1(VALU_DEP_1)
	v_fma_f64 v[52:53], v[86:87], v[12:13], v[4:5]
	v_mul_f64_e32 v[4:5], v[88:89], v[12:13]
	v_fma_f64 v[54:55], v[86:87], v[14:15], -v[4:5]
	scratch_load_b128 v[12:15], off, off offset:92 th:TH_LOAD_LU ; 16-byte Folded Reload
	s_wait_loadcnt 0x0
	v_mul_f64_e32 v[4:5], v[14:15], v[22:23]
	s_delay_alu instid0(VALU_DEP_1) | instskip(SKIP_1) | instid1(VALU_DEP_1)
	v_fma_f64 v[56:57], v[12:13], v[20:21], v[4:5]
	v_mul_f64_e32 v[4:5], v[14:15], v[20:21]
	v_fma_f64 v[58:59], v[12:13], v[22:23], -v[4:5]
	scratch_load_b128 v[12:15], off, off offset:76 th:TH_LOAD_LU ; 16-byte Folded Reload
	s_wait_loadcnt 0x0
	v_mul_f64_e32 v[4:5], v[14:15], v[18:19]
	v_mul_f64_e32 v[6:7], v[14:15], v[16:17]
	s_delay_alu instid0(VALU_DEP_2) | instskip(NEXT) | instid1(VALU_DEP_2)
	v_fma_f64 v[60:61], v[12:13], v[16:17], v[4:5]
	v_fma_f64 v[62:63], v[12:13], v[18:19], -v[6:7]
	scratch_load_b128 v[16:19], off, off offset:108 th:TH_LOAD_LU ; 16-byte Folded Reload
	ds_load_b128 v[4:7], v252 offset:26656
	s_wait_loadcnt_dscnt 0x1
	v_mul_f64_e32 v[12:13], v[18:19], v[10:11]
	v_mul_f64_e32 v[14:15], v[18:19], v[8:9]
	s_delay_alu instid0(VALU_DEP_2) | instskip(NEXT) | instid1(VALU_DEP_2)
	v_fma_f64 v[64:65], v[16:17], v[8:9], v[12:13]
	v_fma_f64 v[66:67], v[16:17], v[10:11], -v[14:15]
	s_wait_dscnt 0x0
	v_mul_f64_e32 v[8:9], v[80:81], v[6:7]
	v_mul_f64_e32 v[10:11], v[80:81], v[4:5]
	v_add_f64_e64 v[12:13], v[24:25], -v[28:29]
	v_add_f64_e64 v[14:15], v[32:33], -v[36:37]
	v_add_f64_e32 v[16:17], v[28:29], v[36:37]
	v_fma_f64 v[68:69], v[78:79], v[4:5], v[8:9]
	v_fma_f64 v[70:71], v[78:79], v[6:7], -v[10:11]
	v_add_f64_e64 v[8:9], v[26:27], -v[30:31]
	v_add_f64_e64 v[10:11], v[34:35], -v[38:39]
	v_add_f64_e32 v[18:19], v[12:13], v[14:15]
	v_add_f64_e32 v[12:13], v[30:31], v[38:39]
	ds_load_b128 v[4:7], v252
	v_add_f64_e64 v[78:79], v[28:29], -v[36:37]
	v_add_f64_e32 v[20:21], v[8:9], v[10:11]
	ds_load_b128 v[8:11], v252 offset:1904
	s_wait_dscnt 0x1
	v_fma_f64 v[16:17], v[16:17], -0.5, v[4:5]
	v_fma_f64 v[22:23], v[12:13], -0.5, v[6:7]
	global_wb scope:SCOPE_SE
	s_wait_dscnt 0x0
	s_barrier_signal -1
	s_barrier_wait -1
	global_inv scope:SCOPE_SE
	v_fma_f64 v[12:13], v[72:73], s[14:15], v[16:17]
	v_fma_f64 v[14:15], v[76:77], s[16:17], v[22:23]
	;; [unrolled: 1-line block ×4, first 2 shown]
	s_delay_alu instid0(VALU_DEP_4) | instskip(SKIP_1) | instid1(VALU_DEP_4)
	v_fma_f64 v[12:13], v[74:75], s[2:3], v[12:13]
	s_wait_alu 0xfffe
	v_fma_f64 v[14:15], v[78:79], s[10:11], v[14:15]
	s_delay_alu instid0(VALU_DEP_4) | instskip(NEXT) | instid1(VALU_DEP_4)
	v_fma_f64 v[16:17], v[74:75], s[10:11], v[16:17]
	v_fma_f64 v[22:23], v[78:79], s[2:3], v[22:23]
	s_delay_alu instid0(VALU_DEP_4) | instskip(NEXT) | instid1(VALU_DEP_4)
	v_fma_f64 v[12:13], v[18:19], s[18:19], v[12:13]
	;; [unrolled: 3-line block ×3, first 2 shown]
	v_fma_f64 v[18:19], v[20:21], s[18:19], v[22:23]
	v_add_f64_e32 v[20:21], v[24:25], v[32:33]
	v_add_f64_e32 v[22:23], v[26:27], v[34:35]
	s_delay_alu instid0(VALU_DEP_2) | instskip(SKIP_1) | instid1(VALU_DEP_3)
	v_fma_f64 v[20:21], v[20:21], -0.5, v[4:5]
	v_add_f64_e32 v[4:5], v[4:5], v[24:25]
	v_fma_f64 v[22:23], v[22:23], -0.5, v[6:7]
	v_add_f64_e32 v[6:7], v[6:7], v[26:27]
	v_add_f64_e64 v[24:25], v[28:29], -v[24:25]
	v_add_f64_e64 v[26:27], v[30:31], -v[26:27]
	v_add_f64_e32 v[4:5], v[4:5], v[28:29]
	v_add_f64_e64 v[28:29], v[36:37], -v[32:33]
	v_add_f64_e32 v[6:7], v[6:7], v[30:31]
	v_add_f64_e64 v[30:31], v[38:39], -v[34:35]
	s_delay_alu instid0(VALU_DEP_4) | instskip(NEXT) | instid1(VALU_DEP_4)
	v_add_f64_e32 v[4:5], v[4:5], v[36:37]
	v_add_f64_e32 v[24:25], v[24:25], v[28:29]
	s_delay_alu instid0(VALU_DEP_4) | instskip(NEXT) | instid1(VALU_DEP_4)
	v_add_f64_e32 v[6:7], v[6:7], v[38:39]
	v_add_f64_e32 v[26:27], v[26:27], v[30:31]
	s_delay_alu instid0(VALU_DEP_4)
	v_add_f64_e32 v[4:5], v[4:5], v[32:33]
	v_fma_f64 v[32:33], v[74:75], s[16:17], v[20:21]
	v_fma_f64 v[20:21], v[74:75], s[14:15], v[20:21]
	v_add_f64_e32 v[6:7], v[6:7], v[34:35]
	v_fma_f64 v[34:35], v[78:79], s[14:15], v[22:23]
	v_fma_f64 v[22:23], v[78:79], s[16:17], v[22:23]
	v_add_f64_e64 v[74:75], v[46:47], -v[50:51]
	v_add_f64_e64 v[78:79], v[44:45], -v[48:49]
	v_fma_f64 v[28:29], v[72:73], s[2:3], v[32:33]
	v_fma_f64 v[30:31], v[72:73], s[10:11], v[20:21]
	v_add_f64_e64 v[72:73], v[42:43], -v[54:55]
	v_fma_f64 v[32:33], v[76:77], s[10:11], v[34:35]
	v_fma_f64 v[34:35], v[76:77], s[2:3], v[22:23]
	;; [unrolled: 3-line block ×3, first 2 shown]
	v_add_f64_e64 v[28:29], v[40:41], -v[44:45]
	v_add_f64_e64 v[30:31], v[52:53], -v[48:49]
	v_fma_f64 v[22:23], v[26:27], s[18:19], v[32:33]
	v_fma_f64 v[26:27], v[26:27], s[18:19], v[34:35]
	s_delay_alu instid0(VALU_DEP_3) | instskip(SKIP_2) | instid1(VALU_DEP_1)
	v_add_f64_e32 v[32:33], v[28:29], v[30:31]
	v_add_f64_e64 v[28:29], v[42:43], -v[46:47]
	v_add_f64_e64 v[30:31], v[54:55], -v[50:51]
	v_add_f64_e32 v[34:35], v[28:29], v[30:31]
	v_add_f64_e32 v[28:29], v[44:45], v[48:49]
	s_delay_alu instid0(VALU_DEP_1) | instskip(SKIP_1) | instid1(VALU_DEP_1)
	v_fma_f64 v[36:37], v[28:29], -0.5, v[8:9]
	v_add_f64_e32 v[28:29], v[46:47], v[50:51]
	v_fma_f64 v[38:39], v[28:29], -0.5, v[10:11]
	s_delay_alu instid0(VALU_DEP_3) | instskip(SKIP_1) | instid1(VALU_DEP_3)
	v_fma_f64 v[28:29], v[72:73], s[14:15], v[36:37]
	v_fma_f64 v[36:37], v[72:73], s[16:17], v[36:37]
	;; [unrolled: 1-line block ×3, first 2 shown]
	s_delay_alu instid0(VALU_DEP_3) | instskip(SKIP_1) | instid1(VALU_DEP_4)
	v_fma_f64 v[28:29], v[74:75], s[2:3], v[28:29]
	v_fma_f64 v[38:39], v[76:77], s[14:15], v[38:39]
	;; [unrolled: 1-line block ×3, first 2 shown]
	s_delay_alu instid0(VALU_DEP_4) | instskip(NEXT) | instid1(VALU_DEP_4)
	v_fma_f64 v[30:31], v[78:79], s[10:11], v[30:31]
	v_fma_f64 v[28:29], v[32:33], s[18:19], v[28:29]
	s_delay_alu instid0(VALU_DEP_4) | instskip(NEXT) | instid1(VALU_DEP_4)
	v_fma_f64 v[38:39], v[78:79], s[2:3], v[38:39]
	v_fma_f64 v[32:33], v[32:33], s[18:19], v[36:37]
	v_add_f64_e32 v[36:37], v[40:41], v[52:53]
	v_fma_f64 v[30:31], v[34:35], s[18:19], v[30:31]
	s_delay_alu instid0(VALU_DEP_4) | instskip(SKIP_1) | instid1(VALU_DEP_4)
	v_fma_f64 v[34:35], v[34:35], s[18:19], v[38:39]
	v_add_f64_e32 v[38:39], v[42:43], v[54:55]
	v_fma_f64 v[36:37], v[36:37], -0.5, v[8:9]
	v_add_f64_e32 v[8:9], v[8:9], v[40:41]
	v_add_f64_e64 v[40:41], v[44:45], -v[40:41]
	s_delay_alu instid0(VALU_DEP_4) | instskip(SKIP_1) | instid1(VALU_DEP_4)
	v_fma_f64 v[38:39], v[38:39], -0.5, v[10:11]
	v_add_f64_e32 v[10:11], v[10:11], v[42:43]
	v_add_f64_e32 v[8:9], v[8:9], v[44:45]
	v_add_f64_e64 v[42:43], v[46:47], -v[42:43]
	v_add_f64_e64 v[44:45], v[48:49], -v[52:53]
	s_delay_alu instid0(VALU_DEP_4) | instskip(NEXT) | instid1(VALU_DEP_4)
	v_add_f64_e32 v[10:11], v[10:11], v[46:47]
	v_add_f64_e32 v[8:9], v[8:9], v[48:49]
	v_add_f64_e64 v[46:47], v[50:51], -v[54:55]
	v_fma_f64 v[48:49], v[74:75], s[16:17], v[36:37]
	v_fma_f64 v[36:37], v[74:75], s[14:15], v[36:37]
	v_add_f64_e32 v[40:41], v[40:41], v[44:45]
	v_add_f64_e64 v[74:75], v[58:59], -v[70:71]
	v_add_f64_e32 v[10:11], v[10:11], v[50:51]
	v_fma_f64 v[50:51], v[78:79], s[14:15], v[38:39]
	v_add_f64_e32 v[42:43], v[42:43], v[46:47]
	v_fma_f64 v[44:45], v[72:73], s[2:3], v[48:49]
	v_fma_f64 v[46:47], v[72:73], s[10:11], v[36:37]
	;; [unrolled: 1-line block ×3, first 2 shown]
	v_add_f64_e32 v[8:9], v[8:9], v[52:53]
	v_add_f64_e64 v[72:73], v[62:63], -v[66:67]
	v_add_f64_e64 v[78:79], v[56:57], -v[68:69]
	v_add_f64_e32 v[10:11], v[10:11], v[54:55]
	v_fma_f64 v[48:49], v[76:77], s[10:11], v[50:51]
	v_fma_f64 v[36:37], v[40:41], s[18:19], v[44:45]
	;; [unrolled: 1-line block ×3, first 2 shown]
	v_add_f64_e64 v[44:45], v[60:61], -v[56:57]
	v_add_f64_e64 v[46:47], v[64:65], -v[68:69]
	v_fma_f64 v[50:51], v[76:77], s[2:3], v[38:39]
	v_add_f64_e64 v[76:77], v[60:61], -v[64:65]
	v_fma_f64 v[38:39], v[42:43], s[18:19], v[48:49]
	s_delay_alu instid0(VALU_DEP_4) | instskip(SKIP_3) | instid1(VALU_DEP_2)
	v_add_f64_e32 v[48:49], v[44:45], v[46:47]
	v_add_f64_e64 v[44:45], v[62:63], -v[58:59]
	v_add_f64_e64 v[46:47], v[66:67], -v[70:71]
	v_fma_f64 v[42:43], v[42:43], s[18:19], v[50:51]
	v_add_f64_e32 v[50:51], v[44:45], v[46:47]
	v_add_f64_e32 v[44:45], v[56:57], v[68:69]
	s_delay_alu instid0(VALU_DEP_1) | instskip(SKIP_1) | instid1(VALU_DEP_1)
	v_fma_f64 v[52:53], v[44:45], -0.5, v[0:1]
	v_add_f64_e32 v[44:45], v[58:59], v[70:71]
	v_fma_f64 v[54:55], v[44:45], -0.5, v[2:3]
	s_delay_alu instid0(VALU_DEP_3) | instskip(SKIP_1) | instid1(VALU_DEP_3)
	v_fma_f64 v[44:45], v[72:73], s[16:17], v[52:53]
	v_fma_f64 v[52:53], v[72:73], s[14:15], v[52:53]
	;; [unrolled: 1-line block ×3, first 2 shown]
	s_delay_alu instid0(VALU_DEP_3) | instskip(NEXT) | instid1(VALU_DEP_3)
	v_fma_f64 v[44:45], v[74:75], s[2:3], v[44:45]
	v_fma_f64 v[52:53], v[74:75], s[10:11], v[52:53]
	;; [unrolled: 1-line block ×3, first 2 shown]
	s_delay_alu instid0(VALU_DEP_4) | instskip(NEXT) | instid1(VALU_DEP_4)
	v_fma_f64 v[46:47], v[78:79], s[10:11], v[46:47]
	v_fma_f64 v[44:45], v[48:49], s[18:19], v[44:45]
	s_delay_alu instid0(VALU_DEP_4) | instskip(SKIP_3) | instid1(VALU_DEP_3)
	v_fma_f64 v[48:49], v[48:49], s[18:19], v[52:53]
	v_add_f64_e32 v[52:53], v[60:61], v[64:65]
	v_fma_f64 v[54:55], v[78:79], s[2:3], v[54:55]
	v_fma_f64 v[46:47], v[50:51], s[18:19], v[46:47]
	v_fma_f64 v[80:81], v[52:53], -0.5, v[0:1]
	v_add_f64_e32 v[52:53], v[62:63], v[66:67]
	v_add_f64_e32 v[0:1], v[0:1], v[56:57]
	v_fma_f64 v[50:51], v[50:51], s[18:19], v[54:55]
	v_add_f64_e64 v[56:57], v[56:57], -v[60:61]
	s_delay_alu instid0(VALU_DEP_4) | instskip(SKIP_4) | instid1(VALU_DEP_4)
	v_fma_f64 v[82:83], v[52:53], -0.5, v[2:3]
	v_add_f64_e32 v[2:3], v[2:3], v[58:59]
	v_add_f64_e32 v[0:1], v[0:1], v[60:61]
	v_add_f64_e64 v[58:59], v[58:59], -v[62:63]
	v_add_f64_e64 v[60:61], v[68:69], -v[64:65]
	v_add_f64_e32 v[2:3], v[2:3], v[62:63]
	s_delay_alu instid0(VALU_DEP_4) | instskip(SKIP_1) | instid1(VALU_DEP_4)
	v_add_f64_e32 v[0:1], v[0:1], v[64:65]
	v_fma_f64 v[62:63], v[74:75], s[16:17], v[80:81]
	v_add_f64_e32 v[60:61], v[56:57], v[60:61]
	v_fma_f64 v[64:65], v[78:79], s[16:17], v[82:83]
	v_add_f64_e32 v[2:3], v[2:3], v[66:67]
	v_add_f64_e32 v[52:53], v[0:1], v[68:69]
	v_add_f64_e64 v[0:1], v[70:71], -v[66:67]
	v_fma_f64 v[66:67], v[78:79], s[14:15], v[82:83]
	s_delay_alu instid0(VALU_DEP_4) | instskip(SKIP_1) | instid1(VALU_DEP_4)
	v_add_f64_e32 v[54:55], v[2:3], v[70:71]
	v_fma_f64 v[2:3], v[74:75], s[14:15], v[80:81]
	v_add_f64_e32 v[68:69], v[58:59], v[0:1]
	v_fma_f64 v[58:59], v[76:77], s[10:11], v[64:65]
	s_delay_alu instid0(VALU_DEP_3) | instskip(SKIP_2) | instid1(VALU_DEP_4)
	v_fma_f64 v[0:1], v[72:73], s[2:3], v[2:3]
	v_fma_f64 v[2:3], v[72:73], s[10:11], v[62:63]
	;; [unrolled: 1-line block ×4, first 2 shown]
	s_delay_alu instid0(VALU_DEP_4) | instskip(NEXT) | instid1(VALU_DEP_4)
	v_fma_f64 v[56:57], v[60:61], s[18:19], v[0:1]
	v_fma_f64 v[0:1], v[60:61], s[18:19], v[2:3]
	scratch_load_b32 v60, off, off offset:144 th:TH_LOAD_LU ; 4-byte Folded Reload
	v_fma_f64 v[2:3], v[68:69], s[18:19], v[62:63]
	s_wait_loadcnt 0x0
	ds_store_b128 v60, v[4:7]
	ds_store_b128 v60, v[12:15] offset:816
	ds_store_b128 v60, v[20:23] offset:1632
	ds_store_b128 v60, v[24:27] offset:2448
	ds_store_b128 v60, v[16:19] offset:3264
	ds_store_b128 v91, v[8:11]
	ds_store_b128 v91, v[28:31] offset:816
	ds_store_b128 v91, v[36:39] offset:1632
	ds_store_b128 v91, v[40:43] offset:2448
	ds_store_b128 v91, v[32:35] offset:3264
	;; [unrolled: 5-line block ×3, first 2 shown]
	global_wb scope:SCOPE_SE
	s_wait_dscnt 0x0
	s_barrier_signal -1
	s_barrier_wait -1
	global_inv scope:SCOPE_SE
	ds_load_b128 v[8:11], v252
	ds_load_b128 v[4:7], v252 offset:1904
	ds_load_b128 v[68:71], v252 offset:4080
	;; [unrolled: 1-line block ×13, first 2 shown]
	s_and_saveexec_b32 s1, s0
	s_cbranch_execz .LBB0_19
; %bb.18:
	ds_load_b128 v[0:3], v252 offset:3808
	ds_load_b128 v[32:35], v252 offset:7888
	s_wait_dscnt 0x0
	scratch_store_b128 off, v[32:35], off offset:12 ; 16-byte Folded Spill
	ds_load_b128 v[176:179], v252 offset:11968
	ds_load_b128 v[180:183], v252 offset:16048
	;; [unrolled: 1-line block ×5, first 2 shown]
.LBB0_19:
	s_wait_alu 0xfffe
	s_or_b32 exec_lo, exec_lo, s1
	scratch_load_b128 v[100:103], off, off offset:124 th:TH_LOAD_LU ; 16-byte Folded Reload
	s_wait_dscnt 0x0
	v_mul_f64_e32 v[84:85], v[142:143], v[66:67]
	v_mul_f64_e32 v[86:87], v[142:143], v[64:65]
	v_mul_f64_e32 v[92:93], v[146:147], v[22:23]
	v_mul_f64_e32 v[94:95], v[146:147], v[20:21]
	v_mul_f64_e32 v[96:97], v[150:151], v[26:27]
	v_mul_f64_e32 v[98:99], v[150:151], v[24:25]
	s_mov_b32 s16, 0x37e14327
	s_mov_b32 s10, 0x36b3c0b5
	;; [unrolled: 1-line block ×16, first 2 shown]
	s_wait_alu 0xfffe
	s_mov_b32 s22, s20
	s_mov_b32 s26, s24
	;; [unrolled: 1-line block ×4, first 2 shown]
	s_delay_alu instid0(VALU_DEP_4) | instskip(NEXT) | instid1(VALU_DEP_4)
	v_fma_f64 v[20:21], v[144:145], v[20:21], v[92:93]
	v_fma_f64 v[22:23], v[144:145], v[22:23], -v[94:95]
	s_delay_alu instid0(VALU_DEP_4) | instskip(NEXT) | instid1(VALU_DEP_4)
	v_fma_f64 v[24:25], v[148:149], v[24:25], v[96:97]
	v_fma_f64 v[26:27], v[148:149], v[26:27], -v[98:99]
	s_wait_loadcnt 0x0
	v_mul_f64_e32 v[32:33], v[102:103], v[70:71]
	v_mul_f64_e32 v[34:35], v[102:103], v[68:69]
	scratch_load_b128 v[102:105], off, off offset:228 th:TH_LOAD_LU ; 16-byte Folded Reload
	v_fma_f64 v[32:33], v[100:101], v[68:69], v[32:33]
	v_fma_f64 v[34:35], v[100:101], v[70:71], -v[34:35]
	v_mul_f64_e32 v[68:69], v[154:155], v[14:15]
	v_mul_f64_e32 v[70:71], v[154:155], v[12:13]
	s_delay_alu instid0(VALU_DEP_2) | instskip(NEXT) | instid1(VALU_DEP_2)
	v_fma_f64 v[12:13], v[152:153], v[12:13], v[68:69]
	v_fma_f64 v[14:15], v[152:153], v[14:15], -v[70:71]
	s_wait_loadcnt 0x0
	v_mul_f64_e32 v[36:37], v[104:105], v[74:75]
	v_mul_f64_e32 v[38:39], v[104:105], v[72:73]
	scratch_load_b128 v[104:107], off, off offset:244 th:TH_LOAD_LU ; 16-byte Folded Reload
	v_fma_f64 v[36:37], v[102:103], v[72:73], v[36:37]
	v_fma_f64 v[38:39], v[102:103], v[74:75], -v[38:39]
	v_mul_f64_e32 v[72:73], v[158:159], v[18:19]
	v_mul_f64_e32 v[74:75], v[158:159], v[16:17]
	s_delay_alu instid0(VALU_DEP_2) | instskip(NEXT) | instid1(VALU_DEP_2)
	v_fma_f64 v[16:17], v[156:157], v[16:17], v[72:73]
	v_fma_f64 v[18:19], v[156:157], v[18:19], -v[74:75]
	s_wait_loadcnt 0x0
	v_mul_f64_e32 v[40:41], v[106:107], v[82:83]
	v_mul_f64_e32 v[42:43], v[106:107], v[80:81]
	scratch_load_b128 v[106:109], off, off offset:260 th:TH_LOAD_LU ; 16-byte Folded Reload
	v_fma_f64 v[40:41], v[104:105], v[80:81], v[40:41]
	v_fma_f64 v[42:43], v[104:105], v[82:83], -v[42:43]
	s_wait_loadcnt 0x0
	v_mul_f64_e32 v[44:45], v[108:109], v[78:79]
	v_mul_f64_e32 v[46:47], v[108:109], v[76:77]
	scratch_load_b128 v[108:111], off, off offset:276 th:TH_LOAD_LU ; 16-byte Folded Reload
	v_fma_f64 v[44:45], v[106:107], v[76:77], v[44:45]
	v_fma_f64 v[46:47], v[106:107], v[78:79], -v[46:47]
	v_add_f64_e32 v[76:77], v[20:21], v[24:25]
	v_add_f64_e32 v[78:79], v[22:23], v[26:27]
	v_add_f64_e64 v[20:21], v[24:25], -v[20:21]
	v_add_f64_e64 v[22:23], v[26:27], -v[22:23]
	;; [unrolled: 1-line block ×4, first 2 shown]
	s_wait_loadcnt 0x0
	v_mul_f64_e32 v[48:49], v[110:111], v[30:31]
	v_mul_f64_e32 v[50:51], v[110:111], v[28:29]
	scratch_load_b128 v[110:113], off, off offset:292 th:TH_LOAD_LU ; 16-byte Folded Reload
	v_fma_f64 v[28:29], v[108:109], v[28:29], v[48:49]
	v_fma_f64 v[30:31], v[108:109], v[30:31], -v[50:51]
	s_wait_loadcnt 0x0
	v_mul_f64_e32 v[52:53], v[112:113], v[58:59]
	v_mul_f64_e32 v[54:55], v[112:113], v[56:57]
	scratch_load_b128 v[112:115], off, off offset:308 th:TH_LOAD_LU ; 16-byte Folded Reload
	v_fma_f64 v[48:49], v[110:111], v[56:57], v[52:53]
	v_fma_f64 v[52:53], v[140:141], v[64:65], v[84:85]
	v_fma_f64 v[50:51], v[110:111], v[58:59], -v[54:55]
	v_fma_f64 v[54:55], v[140:141], v[66:67], -v[86:87]
	v_add_f64_e32 v[64:65], v[36:37], v[44:45]
	v_add_f64_e32 v[66:67], v[38:39], v[46:47]
	v_add_f64_e64 v[36:37], v[36:37], -v[44:45]
	v_add_f64_e64 v[38:39], v[38:39], -v[46:47]
	v_add_f64_e32 v[44:45], v[12:13], v[16:17]
	v_add_f64_e32 v[46:47], v[14:15], v[18:19]
	v_add_f64_e64 v[12:13], v[16:17], -v[12:13]
	v_add_f64_e64 v[14:15], v[18:19], -v[14:15]
	v_add_f64_e32 v[68:69], v[28:29], v[52:53]
	v_add_f64_e64 v[16:17], v[28:29], -v[52:53]
	v_add_f64_e32 v[70:71], v[30:31], v[54:55]
	v_add_f64_e64 v[18:19], v[30:31], -v[54:55]
	v_add_f64_e64 v[52:53], v[76:77], -v[64:65]
	;; [unrolled: 1-line block ×5, first 2 shown]
	s_delay_alu instid0(VALU_DEP_2) | instskip(NEXT) | instid1(VALU_DEP_2)
	v_mul_f64_e32 v[94:95], s[2:3], v[82:83]
	v_mul_f64_e32 v[92:93], s[2:3], v[80:81]
	s_wait_loadcnt 0x0
	v_mul_f64_e32 v[88:89], v[114:115], v[62:63]
	v_mul_f64_e32 v[90:91], v[114:115], v[60:61]
	s_delay_alu instid0(VALU_DEP_2) | instskip(NEXT) | instid1(VALU_DEP_2)
	v_fma_f64 v[56:57], v[112:113], v[60:61], v[88:89]
	v_fma_f64 v[58:59], v[112:113], v[62:63], -v[90:91]
	v_add_f64_e32 v[60:61], v[32:33], v[40:41]
	v_add_f64_e32 v[62:63], v[34:35], v[42:43]
	s_delay_alu instid0(VALU_DEP_4) | instskip(NEXT) | instid1(VALU_DEP_4)
	v_add_f64_e32 v[72:73], v[48:49], v[56:57]
	v_add_f64_e32 v[74:75], v[50:51], v[58:59]
	s_delay_alu instid0(VALU_DEP_4)
	v_add_f64_e32 v[32:33], v[64:65], v[60:61]
	v_add_f64_e64 v[42:43], v[50:51], -v[58:59]
	v_add_f64_e32 v[34:35], v[66:67], v[62:63]
	v_add_f64_e64 v[40:41], v[48:49], -v[56:57]
	v_add_f64_e64 v[48:49], v[60:61], -v[76:77]
	;; [unrolled: 1-line block ×7, first 2 shown]
	v_add_f64_e32 v[36:37], v[20:21], v[36:37]
	v_add_f64_e32 v[38:39], v[22:23], v[38:39]
	v_add_f64_e64 v[22:23], v[26:27], -v[22:23]
	v_mul_f64_e32 v[66:67], s[10:11], v[54:55]
	v_add_f64_e64 v[20:21], v[24:25], -v[20:21]
	v_mul_f64_e32 v[64:65], s[10:11], v[52:53]
	v_add_f64_e32 v[28:29], v[72:73], v[68:69]
	v_add_f64_e32 v[30:31], v[74:75], v[70:71]
	;; [unrolled: 1-line block ×3, first 2 shown]
	v_add_f64_e64 v[76:77], v[68:69], -v[44:45]
	v_add_f64_e64 v[86:87], v[14:15], -v[42:43]
	v_add_f64_e32 v[34:35], v[78:79], v[34:35]
	v_add_f64_e64 v[78:79], v[70:71], -v[46:47]
	v_add_f64_e64 v[84:85], v[12:13], -v[40:41]
	;; [unrolled: 1-line block ×4, first 2 shown]
	v_add_f64_e32 v[42:43], v[14:15], v[42:43]
	v_mul_f64_e32 v[48:49], s[16:17], v[48:49]
	v_mul_f64_e32 v[50:51], s[16:17], v[50:51]
	;; [unrolled: 1-line block ×3, first 2 shown]
	v_add_f64_e64 v[68:69], v[72:73], -v[68:69]
	v_mul_f64_e32 v[56:57], s[18:19], v[56:57]
	v_add_f64_e32 v[40:41], v[12:13], v[40:41]
	v_add_f64_e64 v[12:13], v[16:17], -v[12:13]
	v_add_f64_e64 v[14:15], v[18:19], -v[14:15]
	;; [unrolled: 1-line block ×3, first 2 shown]
	v_add_f64_e32 v[24:25], v[36:37], v[24:25]
	v_add_f64_e32 v[26:27], v[38:39], v[26:27]
	;; [unrolled: 1-line block ×3, first 2 shown]
	v_add_f64_e64 v[44:45], v[44:45], -v[72:73]
	v_add_f64_e32 v[30:31], v[46:47], v[30:31]
	v_add_f64_e64 v[46:47], v[46:47], -v[74:75]
	v_add_f64_e32 v[8:9], v[8:9], v[32:33]
	v_mul_f64_e32 v[76:77], s[16:17], v[76:77]
	v_mul_f64_e32 v[86:87], s[18:19], v[86:87]
	v_add_f64_e32 v[10:11], v[10:11], v[34:35]
	v_mul_f64_e32 v[78:79], s[16:17], v[78:79]
	v_mul_f64_e32 v[84:85], s[18:19], v[84:85]
	;; [unrolled: 1-line block ×4, first 2 shown]
	v_add_f64_e32 v[18:19], v[42:43], v[18:19]
	v_fma_f64 v[36:37], v[52:53], s[10:11], v[48:49]
	v_fma_f64 v[38:39], v[54:55], s[10:11], v[50:51]
	v_fma_f64 v[42:43], v[62:63], s[20:21], -v[66:67]
	v_fma_f64 v[54:55], v[22:23], s[24:25], v[58:59]
	s_wait_alu 0xfffe
	v_fma_f64 v[22:23], v[22:23], s[26:27], -v[94:95]
	v_fma_f64 v[48:49], v[60:61], s[22:23], -v[48:49]
	v_fma_f64 v[52:53], v[20:21], s[24:25], v[56:57]
	v_add_f64_e32 v[16:17], v[40:41], v[16:17]
	v_fma_f64 v[40:41], v[60:61], s[20:21], -v[64:65]
	v_fma_f64 v[50:51], v[62:63], s[22:23], -v[50:51]
	;; [unrolled: 1-line block ×5, first 2 shown]
	v_add_f64_e32 v[4:5], v[4:5], v[28:29]
	v_mul_f64_e32 v[72:73], s[10:11], v[44:45]
	v_add_f64_e32 v[6:7], v[6:7], v[30:31]
	v_mul_f64_e32 v[74:75], s[10:11], v[46:47]
	v_fma_f64 v[32:33], v[32:33], s[14:15], v[8:9]
	v_fma_f64 v[44:45], v[44:45], s[10:11], v[76:77]
	v_fma_f64 v[66:67], v[90:91], s[2:3], -v[86:87]
	v_fma_f64 v[76:77], v[68:69], s[22:23], -v[76:77]
	v_fma_f64 v[34:35], v[34:35], s[14:15], v[10:11]
	v_fma_f64 v[46:47], v[46:47], s[10:11], v[78:79]
	;; [unrolled: 1-line block ×4, first 2 shown]
	v_fma_f64 v[12:13], v[12:13], s[26:27], -v[96:97]
	v_fma_f64 v[14:15], v[14:15], s[26:27], -v[98:99]
	;; [unrolled: 1-line block ×4, first 2 shown]
	v_fma_f64 v[54:55], v[26:27], s[28:29], v[54:55]
	v_fma_f64 v[52:53], v[24:25], s[28:29], v[52:53]
	;; [unrolled: 1-line block ×5, first 2 shown]
	v_fma_f64 v[68:69], v[68:69], s[20:21], -v[72:73]
	v_fma_f64 v[30:31], v[30:31], s[14:15], v[6:7]
	v_fma_f64 v[70:71], v[70:71], s[20:21], -v[74:75]
	v_fma_f64 v[74:75], v[26:27], s[28:29], v[22:23]
	v_add_f64_e32 v[48:49], v[48:49], v[32:33]
	v_fma_f64 v[66:67], v[18:19], s[28:29], v[66:67]
	v_add_f64_e32 v[36:37], v[36:37], v[32:33]
	v_add_f64_e32 v[38:39], v[38:39], v[34:35]
	v_fma_f64 v[72:73], v[24:25], s[28:29], v[20:21]
	v_fma_f64 v[60:61], v[16:17], s[28:29], v[60:61]
	v_fma_f64 v[62:63], v[18:19], s[28:29], v[62:63]
	v_add_f64_e32 v[50:51], v[50:51], v[34:35]
	v_fma_f64 v[80:81], v[16:17], s[28:29], v[12:13]
	v_fma_f64 v[82:83], v[18:19], s[28:29], v[14:15]
	v_add_f64_e32 v[24:25], v[40:41], v[32:33]
	v_add_f64_e32 v[26:27], v[42:43], v[34:35]
	v_fma_f64 v[64:65], v[16:17], s[28:29], v[64:65]
	v_add_f64_e32 v[84:85], v[44:45], v[28:29]
	v_add_f64_e32 v[68:69], v[68:69], v[28:29]
	;; [unrolled: 1-line block ×7, first 2 shown]
	v_add_f64_e64 v[28:29], v[48:49], -v[74:75]
	v_add_f64_e32 v[12:13], v[54:55], v[36:37]
	v_add_f64_e64 v[14:15], v[38:39], -v[52:53]
	v_add_f64_e64 v[32:33], v[36:37], -v[54:55]
	v_add_f64_e32 v[34:35], v[52:53], v[38:39]
	v_add_f64_e64 v[18:19], v[50:51], -v[72:73]
	v_add_f64_e32 v[30:31], v[72:73], v[50:51]
	;; [unrolled: 2-line block ×3, first 2 shown]
	v_add_f64_e32 v[24:25], v[58:59], v[24:25]
	v_add_f64_e64 v[26:27], v[26:27], -v[56:57]
	v_add_f64_e32 v[36:37], v[62:63], v[84:85]
	v_add_f64_e32 v[48:49], v[66:67], v[68:69]
	v_add_f64_e64 v[38:39], v[86:87], -v[60:61]
	v_add_f64_e32 v[40:41], v[82:83], v[76:77]
	v_add_f64_e64 v[42:43], v[78:79], -v[80:81]
	v_add_f64_e64 v[44:45], v[68:69], -v[66:67]
	v_add_f64_e32 v[46:47], v[64:65], v[70:71]
	v_add_f64_e64 v[50:51], v[70:71], -v[64:65]
	;; [unrolled: 3-line block ×3, first 2 shown]
	v_add_f64_e32 v[58:59], v[60:61], v[86:87]
	ds_store_b128 v252, v[8:11]
	ds_store_b128 v252, v[4:7] offset:1904
	ds_store_b128 v252, v[12:15] offset:4080
	;; [unrolled: 1-line block ×13, first 2 shown]
	s_mov_b32 s1, exec_lo
	scratch_load_b32 v48, off, off offset:8 ; 4-byte Folded Reload
	s_wait_alu 0xfffe
	s_and_b32 s0, s1, s0
	s_wait_alu 0xfffe
	s_mov_b32 exec_lo, s0
	s_cbranch_execz .LBB0_21
; %bb.20:
	s_clause 0x1
	scratch_load_b128 v[28:31], off, off offset:12 th:TH_LOAD_LU
	scratch_load_b128 v[32:35], off, off offset:404 th:TH_LOAD_LU
	v_mul_f64_e32 v[4:5], v[126:127], v[170:171]
	v_mul_f64_e32 v[8:9], v[130:131], v[164:165]
	v_mul_f64_e32 v[10:11], v[122:123], v[176:177]
	v_mul_f64_e32 v[14:15], v[126:127], v[172:173]
	v_mul_f64_e32 v[16:17], v[122:123], v[178:179]
	v_mul_f64_e32 v[18:19], v[130:131], v[166:167]
	v_mul_f64_e32 v[20:21], v[138:139], v[162:163]
	v_mul_f64_e32 v[22:23], v[134:135], v[182:183]
	v_mul_f64_e32 v[24:25], v[134:135], v[180:181]
	v_mul_f64_e32 v[26:27], v[138:139], v[160:161]
	v_fma_f64 v[4:5], v[124:125], v[172:173], -v[4:5]
	v_fma_f64 v[8:9], v[128:129], v[166:167], -v[8:9]
	;; [unrolled: 1-line block ×3, first 2 shown]
	v_fma_f64 v[14:15], v[124:125], v[170:171], v[14:15]
	v_fma_f64 v[16:17], v[120:121], v[176:177], v[16:17]
	;; [unrolled: 1-line block ×5, first 2 shown]
	v_fma_f64 v[24:25], v[132:133], v[182:183], -v[24:25]
	v_fma_f64 v[26:27], v[136:137], v[162:163], -v[26:27]
	s_delay_alu instid0(VALU_DEP_3) | instskip(SKIP_1) | instid1(VALU_DEP_3)
	v_add_f64_e64 v[36:37], v[20:21], -v[22:23]
	v_add_f64_e32 v[20:21], v[22:23], v[20:21]
	v_add_f64_e64 v[22:23], v[26:27], -v[24:25]
	s_wait_loadcnt 0x0
	v_mul_f64_e32 v[6:7], v[34:35], v[28:29]
	v_mul_f64_e32 v[12:13], v[34:35], v[30:31]
	v_add_f64_e32 v[34:35], v[16:17], v[18:19]
	v_add_f64_e64 v[16:17], v[16:17], -v[18:19]
	v_add_f64_e32 v[18:19], v[24:25], v[26:27]
	v_fma_f64 v[6:7], v[32:33], v[30:31], -v[6:7]
	v_fma_f64 v[12:13], v[32:33], v[28:29], v[12:13]
	v_add_f64_e32 v[30:31], v[10:11], v[8:9]
	v_add_f64_e64 v[8:9], v[10:11], -v[8:9]
	v_add_f64_e64 v[10:11], v[36:37], -v[16:17]
	v_add_f64_e32 v[28:29], v[6:7], v[4:5]
	v_add_f64_e32 v[32:33], v[12:13], v[14:15]
	v_add_f64_e64 v[12:13], v[12:13], -v[14:15]
	v_add_f64_e64 v[4:5], v[6:7], -v[4:5]
	;; [unrolled: 1-line block ×3, first 2 shown]
	v_mul_f64_e32 v[10:11], s[18:19], v[10:11]
	v_add_f64_e32 v[14:15], v[30:31], v[28:29]
	v_add_f64_e32 v[6:7], v[34:35], v[32:33]
	v_add_f64_e64 v[24:25], v[28:29], -v[18:19]
	v_add_f64_e64 v[26:27], v[32:33], -v[20:21]
	;; [unrolled: 1-line block ×5, first 2 shown]
	v_add_f64_e32 v[16:17], v[36:37], v[16:17]
	v_add_f64_e32 v[8:9], v[22:23], v[8:9]
	v_add_f64_e64 v[22:23], v[4:5], -v[22:23]
	v_add_f64_e64 v[28:29], v[30:31], -v[28:29]
	v_mul_f64_e32 v[40:41], s[18:19], v[40:41]
	v_add_f64_e64 v[32:33], v[34:35], -v[32:33]
	v_add_f64_e32 v[14:15], v[18:19], v[14:15]
	v_add_f64_e64 v[18:19], v[18:19], -v[30:31]
	v_add_f64_e32 v[6:7], v[20:21], v[6:7]
	v_add_f64_e64 v[20:21], v[20:21], -v[34:35]
	v_mul_f64_e32 v[24:25], s[16:17], v[24:25]
	v_mul_f64_e32 v[26:27], s[16:17], v[26:27]
	;; [unrolled: 1-line block ×4, first 2 shown]
	v_add_f64_e32 v[12:13], v[16:17], v[12:13]
	v_add_f64_e32 v[4:5], v[8:9], v[4:5]
	v_fma_f64 v[8:9], v[44:45], s[24:25], v[10:11]
	v_fma_f64 v[10:11], v[38:39], s[2:3], -v[10:11]
	v_add_f64_e32 v[2:3], v[2:3], v[14:15]
	v_mul_f64_e32 v[30:31], s[10:11], v[18:19]
	v_add_f64_e32 v[0:1], v[0:1], v[6:7]
	v_mul_f64_e32 v[34:35], s[10:11], v[20:21]
	v_fma_f64 v[16:17], v[18:19], s[10:11], v[24:25]
	v_fma_f64 v[18:19], v[20:21], s[10:11], v[26:27]
	v_fma_f64 v[20:21], v[44:45], s[26:27], -v[36:37]
	v_fma_f64 v[24:25], v[28:29], s[22:23], -v[24:25]
	;; [unrolled: 1-line block ×4, first 2 shown]
	v_fma_f64 v[8:9], v[12:13], s[28:29], v[8:9]
	v_fma_f64 v[14:15], v[14:15], s[14:15], v[2:3]
	v_fma_f64 v[28:29], v[28:29], s[20:21], -v[30:31]
	v_fma_f64 v[30:31], v[22:23], s[24:25], v[40:41]
	v_fma_f64 v[22:23], v[22:23], s[26:27], -v[46:47]
	;; [unrolled: 2-line block ×3, first 2 shown]
	v_fma_f64 v[20:21], v[12:13], s[28:29], v[20:21]
	v_fma_f64 v[12:13], v[12:13], s[28:29], v[10:11]
	v_add_f64_e32 v[16:17], v[16:17], v[14:15]
	v_add_f64_e32 v[24:25], v[24:25], v[14:15]
	v_fma_f64 v[30:31], v[4:5], s[28:29], v[30:31]
	v_fma_f64 v[34:35], v[4:5], s[28:29], v[22:23]
	;; [unrolled: 1-line block ×3, first 2 shown]
	v_add_f64_e32 v[36:37], v[18:19], v[6:7]
	v_add_f64_e32 v[38:39], v[26:27], v[6:7]
	;; [unrolled: 1-line block ×4, first 2 shown]
	v_add_f64_e64 v[26:27], v[16:17], -v[8:9]
	v_add_f64_e32 v[10:11], v[20:21], v[24:25]
	v_add_f64_e64 v[22:23], v[24:25], -v[20:21]
	v_add_f64_e32 v[6:7], v[8:9], v[16:17]
	v_add_f64_e32 v[24:25], v[30:31], v[36:37]
	;; [unrolled: 1-line block ×4, first 2 shown]
	v_add_f64_e64 v[16:17], v[32:33], -v[4:5]
	v_add_f64_e64 v[14:15], v[28:29], -v[12:13]
	v_add_f64_e32 v[12:13], v[4:5], v[32:33]
	v_add_f64_e64 v[8:9], v[38:39], -v[34:35]
	v_add_f64_e64 v[4:5], v[36:37], -v[30:31]
	ds_store_b128 v252, v[0:3] offset:3808
	ds_store_b128 v252, v[24:27] offset:7888
	;; [unrolled: 1-line block ×7, first 2 shown]
.LBB0_21:
	s_or_b32 exec_lo, exec_lo, s1
	global_wb scope:SCOPE_SE
	s_wait_storecnt 0x0
	s_wait_loadcnt_dscnt 0x0
	s_barrier_signal -1
	s_barrier_wait -1
	global_inv scope:SCOPE_SE
	s_and_b32 exec_lo, exec_lo, vcc_lo
	s_cbranch_execz .LBB0_23
; %bb.22:
	global_load_b128 v[0:3], v255, s[8:9]
	ds_load_b128 v[4:7], v252
	ds_load_b128 v[8:11], v255 offset:1680
	ds_load_b128 v[12:15], v255 offset:26880
	s_mov_b32 s0, 0x125b8012
	s_mov_b32 s1, 0x3f425b80
	s_mul_u64 s[2:3], s[4:5], 0x690
	s_wait_loadcnt_dscnt 0x2
	v_mul_f64_e32 v[16:17], v[6:7], v[2:3]
	v_mul_f64_e32 v[2:3], v[4:5], v[2:3]
	s_delay_alu instid0(VALU_DEP_2) | instskip(NEXT) | instid1(VALU_DEP_2)
	v_fma_f64 v[4:5], v[4:5], v[0:1], v[16:17]
	v_fma_f64 v[2:3], v[0:1], v[6:7], -v[2:3]
	scratch_load_b64 v[0:1], off, off th:TH_LOAD_LU ; 8-byte Folded Reload
	v_mad_co_u64_u32 v[16:17], null, s4, v48, 0
	s_wait_alu 0xfffe
	v_mul_f64_e32 v[2:3], s[0:1], v[2:3]
	s_wait_loadcnt 0x0
	v_mov_b32_e32 v18, v0
	v_mul_f64_e32 v[0:1], s[0:1], v[4:5]
	s_delay_alu instid0(VALU_DEP_4) | instskip(NEXT) | instid1(VALU_DEP_3)
	v_mov_b32_e32 v5, v17
	v_mad_co_u64_u32 v[6:7], null, s6, v18, 0
	s_delay_alu instid0(VALU_DEP_1) | instskip(NEXT) | instid1(VALU_DEP_1)
	v_mov_b32_e32 v4, v7
	v_mad_co_u64_u32 v[17:18], null, s7, v18, v[4:5]
	s_delay_alu instid0(VALU_DEP_3) | instskip(NEXT) | instid1(VALU_DEP_2)
	v_mad_co_u64_u32 v[4:5], null, s5, v48, v[5:6]
	v_mov_b32_e32 v7, v17
	s_delay_alu instid0(VALU_DEP_2) | instskip(NEXT) | instid1(VALU_DEP_2)
	v_mov_b32_e32 v17, v4
	v_lshlrev_b64_e32 v[4:5], 4, v[6:7]
	s_delay_alu instid0(VALU_DEP_2) | instskip(NEXT) | instid1(VALU_DEP_2)
	v_lshlrev_b64_e32 v[6:7], 4, v[16:17]
	v_add_co_u32 v4, vcc_lo, s12, v4
	s_delay_alu instid0(VALU_DEP_3) | instskip(NEXT) | instid1(VALU_DEP_2)
	v_add_co_ci_u32_e32 v5, vcc_lo, s13, v5, vcc_lo
	v_add_co_u32 v4, vcc_lo, v4, v6
	s_wait_alu 0xfffd
	s_delay_alu instid0(VALU_DEP_2) | instskip(NEXT) | instid1(VALU_DEP_2)
	v_add_co_ci_u32_e32 v5, vcc_lo, v5, v7, vcc_lo
	v_add_co_u32 v16, vcc_lo, v4, s2
	global_store_b128 v[4:5], v[0:3], off
	global_load_b128 v[0:3], v255, s[8:9] offset:1680
	s_wait_alu 0xfffd
	v_add_co_ci_u32_e32 v17, vcc_lo, s3, v5, vcc_lo
	s_wait_loadcnt_dscnt 0x1
	v_mul_f64_e32 v[6:7], v[10:11], v[2:3]
	v_mul_f64_e32 v[2:3], v[8:9], v[2:3]
	s_delay_alu instid0(VALU_DEP_2) | instskip(NEXT) | instid1(VALU_DEP_2)
	v_fma_f64 v[6:7], v[8:9], v[0:1], v[6:7]
	v_fma_f64 v[2:3], v[0:1], v[10:11], -v[2:3]
	s_delay_alu instid0(VALU_DEP_2) | instskip(NEXT) | instid1(VALU_DEP_2)
	v_mul_f64_e32 v[0:1], s[0:1], v[6:7]
	v_mul_f64_e32 v[2:3], s[0:1], v[2:3]
	global_store_b128 v[16:17], v[0:3], off
	global_load_b128 v[0:3], v255, s[8:9] offset:3360
	ds_load_b128 v[4:7], v255 offset:3360
	ds_load_b128 v[8:11], v255 offset:5040
	s_wait_loadcnt_dscnt 0x1
	v_mul_f64_e32 v[18:19], v[6:7], v[2:3]
	v_mul_f64_e32 v[2:3], v[4:5], v[2:3]
	s_delay_alu instid0(VALU_DEP_2) | instskip(NEXT) | instid1(VALU_DEP_2)
	v_fma_f64 v[4:5], v[4:5], v[0:1], v[18:19]
	v_fma_f64 v[2:3], v[0:1], v[6:7], -v[2:3]
	s_delay_alu instid0(VALU_DEP_2) | instskip(NEXT) | instid1(VALU_DEP_2)
	v_mul_f64_e32 v[0:1], s[0:1], v[4:5]
	v_mul_f64_e32 v[2:3], s[0:1], v[2:3]
	v_add_co_u32 v4, vcc_lo, v16, s2
	s_wait_alu 0xfffd
	v_add_co_ci_u32_e32 v5, vcc_lo, s3, v17, vcc_lo
	s_delay_alu instid0(VALU_DEP_2) | instskip(SKIP_1) | instid1(VALU_DEP_2)
	v_add_co_u32 v16, vcc_lo, v4, s2
	s_wait_alu 0xfffd
	v_add_co_ci_u32_e32 v17, vcc_lo, s3, v5, vcc_lo
	global_store_b128 v[4:5], v[0:3], off
	global_load_b128 v[0:3], v255, s[8:9] offset:5040
	s_wait_loadcnt_dscnt 0x0
	v_mul_f64_e32 v[6:7], v[10:11], v[2:3]
	v_mul_f64_e32 v[2:3], v[8:9], v[2:3]
	s_delay_alu instid0(VALU_DEP_2) | instskip(NEXT) | instid1(VALU_DEP_2)
	v_fma_f64 v[6:7], v[8:9], v[0:1], v[6:7]
	v_fma_f64 v[2:3], v[0:1], v[10:11], -v[2:3]
	s_delay_alu instid0(VALU_DEP_2) | instskip(NEXT) | instid1(VALU_DEP_2)
	v_mul_f64_e32 v[0:1], s[0:1], v[6:7]
	v_mul_f64_e32 v[2:3], s[0:1], v[2:3]
	global_store_b128 v[16:17], v[0:3], off
	global_load_b128 v[0:3], v255, s[8:9] offset:6720
	ds_load_b128 v[4:7], v255 offset:6720
	ds_load_b128 v[8:11], v255 offset:8400
	s_wait_loadcnt_dscnt 0x1
	v_mul_f64_e32 v[18:19], v[6:7], v[2:3]
	v_mul_f64_e32 v[2:3], v[4:5], v[2:3]
	s_delay_alu instid0(VALU_DEP_2) | instskip(NEXT) | instid1(VALU_DEP_2)
	v_fma_f64 v[4:5], v[4:5], v[0:1], v[18:19]
	v_fma_f64 v[2:3], v[0:1], v[6:7], -v[2:3]
	s_delay_alu instid0(VALU_DEP_2) | instskip(NEXT) | instid1(VALU_DEP_2)
	v_mul_f64_e32 v[0:1], s[0:1], v[4:5]
	v_mul_f64_e32 v[2:3], s[0:1], v[2:3]
	v_add_co_u32 v4, vcc_lo, v16, s2
	s_wait_alu 0xfffd
	v_add_co_ci_u32_e32 v5, vcc_lo, s3, v17, vcc_lo
	s_delay_alu instid0(VALU_DEP_2) | instskip(SKIP_1) | instid1(VALU_DEP_2)
	v_add_co_u32 v16, vcc_lo, v4, s2
	s_wait_alu 0xfffd
	v_add_co_ci_u32_e32 v17, vcc_lo, s3, v5, vcc_lo
	global_store_b128 v[4:5], v[0:3], off
	global_load_b128 v[0:3], v255, s[8:9] offset:8400
	;; [unrolled: 31-line block ×6, first 2 shown]
	s_wait_loadcnt_dscnt 0x0
	v_mul_f64_e32 v[6:7], v[10:11], v[2:3]
	v_mul_f64_e32 v[2:3], v[8:9], v[2:3]
	s_delay_alu instid0(VALU_DEP_2) | instskip(NEXT) | instid1(VALU_DEP_2)
	v_fma_f64 v[6:7], v[8:9], v[0:1], v[6:7]
	v_fma_f64 v[2:3], v[0:1], v[10:11], -v[2:3]
	s_delay_alu instid0(VALU_DEP_2) | instskip(NEXT) | instid1(VALU_DEP_2)
	v_mul_f64_e32 v[0:1], s[0:1], v[6:7]
	v_mul_f64_e32 v[2:3], s[0:1], v[2:3]
	global_store_b128 v[16:17], v[0:3], off
	global_load_b128 v[0:3], v255, s[8:9] offset:23520
	ds_load_b128 v[4:7], v255 offset:23520
	ds_load_b128 v[8:11], v255 offset:25200
	s_wait_loadcnt_dscnt 0x1
	v_mul_f64_e32 v[18:19], v[6:7], v[2:3]
	v_mul_f64_e32 v[2:3], v[4:5], v[2:3]
	s_delay_alu instid0(VALU_DEP_2) | instskip(NEXT) | instid1(VALU_DEP_2)
	v_fma_f64 v[4:5], v[4:5], v[0:1], v[18:19]
	v_fma_f64 v[2:3], v[0:1], v[6:7], -v[2:3]
	s_delay_alu instid0(VALU_DEP_2) | instskip(NEXT) | instid1(VALU_DEP_2)
	v_mul_f64_e32 v[0:1], s[0:1], v[4:5]
	v_mul_f64_e32 v[2:3], s[0:1], v[2:3]
	v_add_co_u32 v4, vcc_lo, v16, s2
	s_wait_alu 0xfffd
	v_add_co_ci_u32_e32 v5, vcc_lo, s3, v17, vcc_lo
	global_store_b128 v[4:5], v[0:3], off
	global_load_b128 v[0:3], v255, s[8:9] offset:25200
	v_add_co_u32 v4, vcc_lo, v4, s2
	s_wait_alu 0xfffd
	v_add_co_ci_u32_e32 v5, vcc_lo, s3, v5, vcc_lo
	s_wait_loadcnt_dscnt 0x0
	v_mul_f64_e32 v[6:7], v[10:11], v[2:3]
	v_mul_f64_e32 v[2:3], v[8:9], v[2:3]
	s_delay_alu instid0(VALU_DEP_2) | instskip(NEXT) | instid1(VALU_DEP_2)
	v_fma_f64 v[6:7], v[8:9], v[0:1], v[6:7]
	v_fma_f64 v[2:3], v[0:1], v[10:11], -v[2:3]
	s_delay_alu instid0(VALU_DEP_2) | instskip(NEXT) | instid1(VALU_DEP_2)
	v_mul_f64_e32 v[0:1], s[0:1], v[6:7]
	v_mul_f64_e32 v[2:3], s[0:1], v[2:3]
	global_store_b128 v[4:5], v[0:3], off
	global_load_b128 v[0:3], v255, s[8:9] offset:26880
	v_add_co_u32 v4, vcc_lo, v4, s2
	s_wait_alu 0xfffd
	v_add_co_ci_u32_e32 v5, vcc_lo, s3, v5, vcc_lo
	s_wait_loadcnt 0x0
	v_mul_f64_e32 v[6:7], v[14:15], v[2:3]
	v_mul_f64_e32 v[2:3], v[12:13], v[2:3]
	s_delay_alu instid0(VALU_DEP_2) | instskip(NEXT) | instid1(VALU_DEP_2)
	v_fma_f64 v[6:7], v[12:13], v[0:1], v[6:7]
	v_fma_f64 v[2:3], v[0:1], v[14:15], -v[2:3]
	s_delay_alu instid0(VALU_DEP_2) | instskip(NEXT) | instid1(VALU_DEP_2)
	v_mul_f64_e32 v[0:1], s[0:1], v[6:7]
	v_mul_f64_e32 v[2:3], s[0:1], v[2:3]
	global_store_b128 v[4:5], v[0:3], off
.LBB0_23:
	s_endpgm
	.section	.rodata,"a",@progbits
	.p2align	6, 0x0
	.amdhsa_kernel bluestein_single_back_len1785_dim1_dp_op_CI_CI
		.amdhsa_group_segment_fixed_size 28560
		.amdhsa_private_segment_fixed_size 744
		.amdhsa_kernarg_size 104
		.amdhsa_user_sgpr_count 2
		.amdhsa_user_sgpr_dispatch_ptr 0
		.amdhsa_user_sgpr_queue_ptr 0
		.amdhsa_user_sgpr_kernarg_segment_ptr 1
		.amdhsa_user_sgpr_dispatch_id 0
		.amdhsa_user_sgpr_private_segment_size 0
		.amdhsa_wavefront_size32 1
		.amdhsa_uses_dynamic_stack 0
		.amdhsa_enable_private_segment 1
		.amdhsa_system_sgpr_workgroup_id_x 1
		.amdhsa_system_sgpr_workgroup_id_y 0
		.amdhsa_system_sgpr_workgroup_id_z 0
		.amdhsa_system_sgpr_workgroup_info 0
		.amdhsa_system_vgpr_workitem_id 0
		.amdhsa_next_free_vgpr 256
		.amdhsa_next_free_sgpr 58
		.amdhsa_reserve_vcc 1
		.amdhsa_float_round_mode_32 0
		.amdhsa_float_round_mode_16_64 0
		.amdhsa_float_denorm_mode_32 3
		.amdhsa_float_denorm_mode_16_64 3
		.amdhsa_fp16_overflow 0
		.amdhsa_workgroup_processor_mode 1
		.amdhsa_memory_ordered 1
		.amdhsa_forward_progress 0
		.amdhsa_round_robin_scheduling 0
		.amdhsa_exception_fp_ieee_invalid_op 0
		.amdhsa_exception_fp_denorm_src 0
		.amdhsa_exception_fp_ieee_div_zero 0
		.amdhsa_exception_fp_ieee_overflow 0
		.amdhsa_exception_fp_ieee_underflow 0
		.amdhsa_exception_fp_ieee_inexact 0
		.amdhsa_exception_int_div_zero 0
	.end_amdhsa_kernel
	.text
.Lfunc_end0:
	.size	bluestein_single_back_len1785_dim1_dp_op_CI_CI, .Lfunc_end0-bluestein_single_back_len1785_dim1_dp_op_CI_CI
                                        ; -- End function
	.section	.AMDGPU.csdata,"",@progbits
; Kernel info:
; codeLenInByte = 30616
; NumSgprs: 60
; NumVgprs: 256
; ScratchSize: 744
; MemoryBound: 0
; FloatMode: 240
; IeeeMode: 1
; LDSByteSize: 28560 bytes/workgroup (compile time only)
; SGPRBlocks: 7
; VGPRBlocks: 31
; NumSGPRsForWavesPerEU: 60
; NumVGPRsForWavesPerEU: 256
; Occupancy: 4
; WaveLimiterHint : 1
; COMPUTE_PGM_RSRC2:SCRATCH_EN: 1
; COMPUTE_PGM_RSRC2:USER_SGPR: 2
; COMPUTE_PGM_RSRC2:TRAP_HANDLER: 0
; COMPUTE_PGM_RSRC2:TGID_X_EN: 1
; COMPUTE_PGM_RSRC2:TGID_Y_EN: 0
; COMPUTE_PGM_RSRC2:TGID_Z_EN: 0
; COMPUTE_PGM_RSRC2:TIDIG_COMP_CNT: 0
	.text
	.p2alignl 7, 3214868480
	.fill 96, 4, 3214868480
	.type	__hip_cuid_71b174a2df8ff127,@object ; @__hip_cuid_71b174a2df8ff127
	.section	.bss,"aw",@nobits
	.globl	__hip_cuid_71b174a2df8ff127
__hip_cuid_71b174a2df8ff127:
	.byte	0                               ; 0x0
	.size	__hip_cuid_71b174a2df8ff127, 1

	.ident	"AMD clang version 19.0.0git (https://github.com/RadeonOpenCompute/llvm-project roc-6.4.0 25133 c7fe45cf4b819c5991fe208aaa96edf142730f1d)"
	.section	".note.GNU-stack","",@progbits
	.addrsig
	.addrsig_sym __hip_cuid_71b174a2df8ff127
	.amdgpu_metadata
---
amdhsa.kernels:
  - .args:
      - .actual_access:  read_only
        .address_space:  global
        .offset:         0
        .size:           8
        .value_kind:     global_buffer
      - .actual_access:  read_only
        .address_space:  global
        .offset:         8
        .size:           8
        .value_kind:     global_buffer
      - .actual_access:  read_only
        .address_space:  global
        .offset:         16
        .size:           8
        .value_kind:     global_buffer
      - .actual_access:  read_only
        .address_space:  global
        .offset:         24
        .size:           8
        .value_kind:     global_buffer
      - .actual_access:  read_only
        .address_space:  global
        .offset:         32
        .size:           8
        .value_kind:     global_buffer
      - .offset:         40
        .size:           8
        .value_kind:     by_value
      - .address_space:  global
        .offset:         48
        .size:           8
        .value_kind:     global_buffer
      - .address_space:  global
        .offset:         56
        .size:           8
        .value_kind:     global_buffer
      - .address_space:  global
        .offset:         64
        .size:           8
        .value_kind:     global_buffer
      - .address_space:  global
        .offset:         72
        .size:           8
        .value_kind:     global_buffer
      - .offset:         80
        .size:           4
        .value_kind:     by_value
      - .address_space:  global
        .offset:         88
        .size:           8
        .value_kind:     global_buffer
      - .address_space:  global
        .offset:         96
        .size:           8
        .value_kind:     global_buffer
    .group_segment_fixed_size: 28560
    .kernarg_segment_align: 8
    .kernarg_segment_size: 104
    .language:       OpenCL C
    .language_version:
      - 2
      - 0
    .max_flat_workgroup_size: 119
    .name:           bluestein_single_back_len1785_dim1_dp_op_CI_CI
    .private_segment_fixed_size: 744
    .sgpr_count:     60
    .sgpr_spill_count: 0
    .symbol:         bluestein_single_back_len1785_dim1_dp_op_CI_CI.kd
    .uniform_work_group_size: 1
    .uses_dynamic_stack: false
    .vgpr_count:     256
    .vgpr_spill_count: 199
    .wavefront_size: 32
    .workgroup_processor_mode: 1
amdhsa.target:   amdgcn-amd-amdhsa--gfx1201
amdhsa.version:
  - 1
  - 2
...

	.end_amdgpu_metadata
